;; amdgpu-corpus repo=ROCm/rocFFT kind=compiled arch=gfx906 opt=O3
	.text
	.amdgcn_target "amdgcn-amd-amdhsa--gfx906"
	.amdhsa_code_object_version 6
	.protected	bluestein_single_fwd_len1071_dim1_half_op_CI_CI ; -- Begin function bluestein_single_fwd_len1071_dim1_half_op_CI_CI
	.globl	bluestein_single_fwd_len1071_dim1_half_op_CI_CI
	.p2align	8
	.type	bluestein_single_fwd_len1071_dim1_half_op_CI_CI,@function
bluestein_single_fwd_len1071_dim1_half_op_CI_CI: ; @bluestein_single_fwd_len1071_dim1_half_op_CI_CI
; %bb.0:
	s_load_dwordx4 s[0:3], s[4:5], 0x28
	v_mul_u32_u24_e32 v1, 0x227, v0
	v_add_u32_sdwa v16, s6, v1 dst_sel:DWORD dst_unused:UNUSED_PAD src0_sel:DWORD src1_sel:WORD_1
	v_mov_b32_e32 v17, 0
	s_waitcnt lgkmcnt(0)
	v_cmp_gt_u64_e32 vcc, s[0:1], v[16:17]
	s_and_saveexec_b64 s[0:1], vcc
	s_cbranch_execz .LBB0_23
; %bb.1:
	s_load_dwordx2 s[6:7], s[4:5], 0x0
	s_load_dwordx2 s[12:13], s[4:5], 0x38
	s_movk_i32 s0, 0x77
	v_mul_lo_u16_sdwa v1, v1, s0 dst_sel:DWORD dst_unused:UNUSED_PAD src0_sel:WORD_1 src1_sel:DWORD
	v_sub_u16_e32 v44, v0, v1
	v_cmp_gt_u16_e64 s[0:1], 63, v44
	v_lshlrev_b32_e32 v43, 2, v44
	s_and_saveexec_b64 s[8:9], s[0:1]
	s_cbranch_execz .LBB0_3
; %bb.2:
	s_load_dwordx2 s[10:11], s[4:5], 0x18
	v_add_u32_e32 v14, 0x200, v43
	s_waitcnt lgkmcnt(0)
	s_load_dwordx4 s[16:19], s[10:11], 0x0
	s_waitcnt lgkmcnt(0)
	v_mad_u64_u32 v[0:1], s[10:11], s18, v16, 0
	v_mad_u64_u32 v[2:3], s[10:11], s16, v44, 0
	;; [unrolled: 1-line block ×4, first 2 shown]
	v_mov_b32_e32 v1, v4
	v_lshlrev_b64 v[0:1], 2, v[0:1]
	v_mov_b32_e32 v3, v5
	v_mov_b32_e32 v6, s3
	v_lshlrev_b64 v[2:3], 2, v[2:3]
	v_add_co_u32_e32 v0, vcc, s2, v0
	v_addc_co_u32_e32 v1, vcc, v6, v1, vcc
	v_add_co_u32_e32 v0, vcc, v0, v2
	s_mul_i32 s2, s17, 0xfc
	s_mul_hi_u32 s3, s16, 0xfc
	v_addc_co_u32_e32 v1, vcc, v1, v3, vcc
	s_add_i32 s2, s3, s2
	s_mul_i32 s3, s16, 0xfc
	v_mov_b32_e32 v3, s2
	v_add_co_u32_e32 v2, vcc, s3, v0
	v_addc_co_u32_e32 v3, vcc, v1, v3, vcc
	global_load_dword v4, v[0:1], off
	global_load_dword v5, v[2:3], off
	global_load_dword v6, v43, s[6:7]
	global_load_dword v7, v43, s[6:7] offset:252
	v_mov_b32_e32 v1, s2
	v_add_co_u32_e32 v0, vcc, s3, v2
	v_addc_co_u32_e32 v1, vcc, v3, v1, vcc
	global_load_dword v2, v[0:1], off
	global_load_dword v3, v43, s[6:7] offset:504
	v_mov_b32_e32 v8, s2
	v_add_co_u32_e32 v0, vcc, s3, v0
	v_addc_co_u32_e32 v1, vcc, v1, v8, vcc
	global_load_dword v8, v[0:1], off
	;; [unrolled: 5-line block ×4, first 2 shown]
	global_load_dword v13, v43, s[6:7] offset:1260
	v_mov_b32_e32 v18, s2
	v_add_co_u32_e32 v0, vcc, s3, v0
	v_addc_co_u32_e32 v1, vcc, v1, v18, vcc
	global_load_dword v15, v43, s[6:7] offset:1512
	global_load_dword v17, v43, s[6:7] offset:1764
	global_load_dword v18, v[0:1], off
	v_mov_b32_e32 v19, s2
	v_add_co_u32_e32 v0, vcc, s3, v0
	v_addc_co_u32_e32 v1, vcc, v1, v19, vcc
	global_load_dword v19, v[0:1], off
	v_add_co_u32_e32 v0, vcc, s3, v0
	v_mov_b32_e32 v24, s2
	v_mov_b32_e32 v27, s2
	;; [unrolled: 1-line block ×5, first 2 shown]
	s_waitcnt vmcnt(15)
	v_lshrrev_b32_e32 v20, 16, v4
	s_waitcnt vmcnt(13)
	v_mul_f16_sdwa v21, v6, v4 dst_sel:DWORD dst_unused:UNUSED_PAD src0_sel:WORD_1 src1_sel:DWORD
	v_mul_f16_sdwa v22, v6, v20 dst_sel:DWORD dst_unused:UNUSED_PAD src0_sel:WORD_1 src1_sel:DWORD
	v_fma_f16 v20, v6, v20, -v21
	v_lshrrev_b32_e32 v21, 16, v5
	s_waitcnt vmcnt(12)
	v_mul_f16_sdwa v23, v7, v5 dst_sel:DWORD dst_unused:UNUSED_PAD src0_sel:WORD_1 src1_sel:DWORD
	v_fma_f16 v4, v6, v4, v22
	v_mul_f16_sdwa v6, v7, v21 dst_sel:DWORD dst_unused:UNUSED_PAD src0_sel:WORD_1 src1_sel:DWORD
	s_waitcnt vmcnt(11)
	v_lshrrev_b32_e32 v22, 16, v2
	v_fma_f16 v21, v7, v21, -v23
	s_waitcnt vmcnt(10)
	v_mul_f16_sdwa v23, v3, v2 dst_sel:DWORD dst_unused:UNUSED_PAD src0_sel:WORD_1 src1_sel:DWORD
	v_pack_b32_f16 v4, v4, v20
	v_fma_f16 v5, v7, v5, v6
	v_mul_f16_sdwa v6, v3, v22 dst_sel:DWORD dst_unused:UNUSED_PAD src0_sel:WORD_1 src1_sel:DWORD
	s_waitcnt vmcnt(9)
	v_lshrrev_b32_e32 v20, 16, v8
	v_fma_f16 v7, v3, v22, -v23
	s_waitcnt vmcnt(8)
	v_mul_f16_sdwa v22, v9, v8 dst_sel:DWORD dst_unused:UNUSED_PAD src0_sel:WORD_1 src1_sel:DWORD
	v_fma_f16 v2, v3, v2, v6
	v_mul_f16_sdwa v3, v9, v20 dst_sel:DWORD dst_unused:UNUSED_PAD src0_sel:WORD_1 src1_sel:DWORD
	v_fma_f16 v6, v9, v20, -v22
	v_fma_f16 v3, v9, v8, v3
	v_mov_b32_e32 v9, s2
	v_addc_co_u32_e32 v1, vcc, v1, v9, vcc
	v_pack_b32_f16 v5, v5, v21
	s_waitcnt vmcnt(7)
	v_lshrrev_b32_e32 v20, 16, v10
	s_waitcnt vmcnt(6)
	v_mul_f16_sdwa v21, v11, v10 dst_sel:DWORD dst_unused:UNUSED_PAD src0_sel:WORD_1 src1_sel:DWORD
	global_load_dword v9, v[0:1], off
	ds_write2_b32 v43, v4, v5 offset1:63
	v_fma_f16 v5, v11, v20, -v21
	global_load_dword v21, v43, s[6:7] offset:2016
	v_mul_f16_sdwa v4, v11, v20 dst_sel:DWORD dst_unused:UNUSED_PAD src0_sel:WORD_1 src1_sel:DWORD
	v_mov_b32_e32 v20, s2
	v_add_co_u32_e32 v0, vcc, s3, v0
	v_addc_co_u32_e32 v1, vcc, v1, v20, vcc
	global_load_dword v20, v[0:1], off
	global_load_dword v22, v43, s[6:7] offset:2268
	v_mov_b32_e32 v23, s2
	v_add_co_u32_e32 v0, vcc, s3, v0
	v_addc_co_u32_e32 v1, vcc, v1, v23, vcc
	global_load_dword v23, v[0:1], off
	global_load_dword v25, v43, s[6:7] offset:2520
	v_add_co_u32_e32 v0, vcc, s3, v0
	v_addc_co_u32_e32 v1, vcc, v1, v24, vcc
	global_load_dword v24, v[0:1], off
	global_load_dword v26, v43, s[6:7] offset:2772
	;; [unrolled: 4-line block ×6, first 2 shown]
	v_pack_b32_f16 v3, v3, v6
	v_mov_b32_e32 v6, s2
	v_add_co_u32_e32 v0, vcc, s3, v0
	v_addc_co_u32_e32 v1, vcc, v1, v6, vcc
	global_load_dword v6, v[0:1], off
	global_load_dword v35, v43, s[6:7] offset:4032
	v_pack_b32_f16 v2, v2, v7
	s_waitcnt vmcnt(23)
	v_lshrrev_b32_e32 v7, 16, v12
	s_waitcnt vmcnt(22)
	v_mul_f16_sdwa v8, v13, v12 dst_sel:DWORD dst_unused:UNUSED_PAD src0_sel:WORD_1 src1_sel:DWORD
	v_mul_f16_sdwa v1, v13, v7 dst_sel:DWORD dst_unused:UNUSED_PAD src0_sel:WORD_1 src1_sel:DWORD
	v_fma_f16 v0, v11, v10, v4
	v_fma_f16 v4, v13, v7, -v8
	v_fma_f16 v1, v13, v12, v1
	v_pack_b32_f16 v0, v0, v5
	v_pack_b32_f16 v1, v1, v4
	ds_write2_b32 v14, v0, v1 offset0:124 offset1:187
	ds_write2_b32 v43, v2, v3 offset0:126 offset1:189
	s_waitcnt vmcnt(19)
	v_lshrrev_b32_e32 v0, 16, v18
	v_mul_f16_sdwa v1, v15, v0 dst_sel:DWORD dst_unused:UNUSED_PAD src0_sel:WORD_1 src1_sel:DWORD
	v_mul_f16_sdwa v2, v15, v18 dst_sel:DWORD dst_unused:UNUSED_PAD src0_sel:WORD_1 src1_sel:DWORD
	v_fma_f16 v1, v15, v18, v1
	v_fma_f16 v0, v15, v0, -v2
	v_pack_b32_f16 v0, v1, v0
	s_waitcnt vmcnt(18)
	v_lshrrev_b32_e32 v1, 16, v19
	v_mul_f16_sdwa v2, v17, v1 dst_sel:DWORD dst_unused:UNUSED_PAD src0_sel:WORD_1 src1_sel:DWORD
	v_mul_f16_sdwa v3, v17, v19 dst_sel:DWORD dst_unused:UNUSED_PAD src0_sel:WORD_1 src1_sel:DWORD
	v_fma_f16 v2, v17, v19, v2
	v_fma_f16 v1, v17, v1, -v3
	v_pack_b32_f16 v1, v2, v1
	v_add_u32_e32 v2, 0x400, v43
	ds_write2_b32 v2, v0, v1 offset0:122 offset1:185
	s_waitcnt vmcnt(17)
	v_lshrrev_b32_e32 v0, 16, v9
	s_waitcnt vmcnt(16)
	v_mul_f16_sdwa v1, v21, v0 dst_sel:DWORD dst_unused:UNUSED_PAD src0_sel:WORD_1 src1_sel:DWORD
	v_mul_f16_sdwa v2, v21, v9 dst_sel:DWORD dst_unused:UNUSED_PAD src0_sel:WORD_1 src1_sel:DWORD
	v_fma_f16 v1, v21, v9, v1
	v_fma_f16 v0, v21, v0, -v2
	v_pack_b32_f16 v0, v1, v0
	s_waitcnt vmcnt(15)
	v_lshrrev_b32_e32 v1, 16, v20
	s_waitcnt vmcnt(14)
	v_mul_f16_sdwa v2, v22, v1 dst_sel:DWORD dst_unused:UNUSED_PAD src0_sel:WORD_1 src1_sel:DWORD
	v_mul_f16_sdwa v3, v22, v20 dst_sel:DWORD dst_unused:UNUSED_PAD src0_sel:WORD_1 src1_sel:DWORD
	v_fma_f16 v2, v22, v20, v2
	v_fma_f16 v1, v22, v1, -v3
	v_pack_b32_f16 v1, v2, v1
	v_add_u32_e32 v2, 0x600, v43
	ds_write2_b32 v2, v0, v1 offset0:120 offset1:183
	s_waitcnt vmcnt(13)
	v_lshrrev_b32_e32 v0, 16, v23
	s_waitcnt vmcnt(12)
	v_mul_f16_sdwa v1, v25, v0 dst_sel:DWORD dst_unused:UNUSED_PAD src0_sel:WORD_1 src1_sel:DWORD
	v_mul_f16_sdwa v2, v25, v23 dst_sel:DWORD dst_unused:UNUSED_PAD src0_sel:WORD_1 src1_sel:DWORD
	v_fma_f16 v1, v25, v23, v1
	v_fma_f16 v0, v25, v0, -v2
	v_pack_b32_f16 v0, v1, v0
	s_waitcnt vmcnt(11)
	v_lshrrev_b32_e32 v1, 16, v24
	s_waitcnt vmcnt(10)
	;; [unrolled: 18-line block ×4, first 2 shown]
	v_mul_f16_sdwa v2, v34, v1 dst_sel:DWORD dst_unused:UNUSED_PAD src0_sel:WORD_1 src1_sel:DWORD
	v_mul_f16_sdwa v3, v34, v32 dst_sel:DWORD dst_unused:UNUSED_PAD src0_sel:WORD_1 src1_sel:DWORD
	v_fma_f16 v2, v34, v32, v2
	v_fma_f16 v1, v34, v1, -v3
	v_pack_b32_f16 v1, v2, v1
	v_add_u32_e32 v2, 0xc00, v43
	ds_write2_b32 v2, v0, v1 offset0:114 offset1:177
	s_waitcnt vmcnt(1)
	v_lshrrev_b32_e32 v0, 16, v6
	s_waitcnt vmcnt(0)
	v_mul_f16_sdwa v1, v35, v0 dst_sel:DWORD dst_unused:UNUSED_PAD src0_sel:WORD_1 src1_sel:DWORD
	v_mul_f16_sdwa v2, v35, v6 dst_sel:DWORD dst_unused:UNUSED_PAD src0_sel:WORD_1 src1_sel:DWORD
	v_fma_f16 v1, v35, v6, v1
	v_fma_f16 v0, v35, v0, -v2
	v_pack_b32_f16 v0, v1, v0
	ds_write_b32 v43, v0 offset:4032
.LBB0_3:
	s_or_b64 exec, exec, s[8:9]
	v_mov_b32_e32 v0, 0
	s_waitcnt lgkmcnt(0)
	s_barrier
	s_waitcnt lgkmcnt(0)
                                        ; implicit-def: $vgpr3
                                        ; implicit-def: $vgpr8
                                        ; implicit-def: $vgpr5
                                        ; implicit-def: $vgpr12
                                        ; implicit-def: $vgpr7
                                        ; implicit-def: $vgpr14
                                        ; implicit-def: $vgpr11
                                        ; implicit-def: $vgpr19
	s_and_saveexec_b64 s[2:3], s[0:1]
	s_cbranch_execz .LBB0_5
; %bb.4:
	v_add_u32_e32 v2, 0x200, v43
	ds_read2_b32 v[0:1], v43 offset1:63
	ds_read2_b32 v[10:11], v43 offset0:126 offset1:189
	ds_read2_b32 v[6:7], v2 offset0:124 offset1:187
	v_add_u32_e32 v2, 0x400, v43
	ds_read2_b32 v[4:5], v2 offset0:122 offset1:185
	v_add_u32_e32 v2, 0x600, v43
	v_add_u32_e32 v8, 0x800, v43
	;; [unrolled: 1-line block ×4, first 2 shown]
	ds_read2_b32 v[2:3], v2 offset0:120 offset1:183
	ds_read2_b32 v[8:9], v8 offset0:118 offset1:181
	;; [unrolled: 1-line block ×4, first 2 shown]
	ds_read_b32 v19, v43 offset:4032
.LBB0_5:
	s_or_b64 exec, exec, s[2:3]
	s_waitcnt lgkmcnt(0)
	v_pk_add_f16 v27, v1, v19 neg_lo:[0,1] neg_hi:[0,1]
	s_mov_b32 s15, 0xb964
	v_pk_add_f16 v28, v19, v1
	s_movk_i32 s3, 0x39e9
	v_mul_f16_sdwa v20, v27, s15 dst_sel:DWORD dst_unused:UNUSED_PAD src0_sel:WORD_1 src1_sel:DWORD
	s_mov_b32 s11, 0xbb29
	s_mov_b32 s14, 0xbbf7
	v_pk_add_f16 v39, v10, v15 neg_lo:[0,1] neg_hi:[0,1]
	v_fma_f16 v17, v28, s3, v20
	s_movk_i32 s8, 0x3722
	v_mul_f16_sdwa v21, v27, s11 dst_sel:DWORD dst_unused:UNUSED_PAD src0_sel:WORD_1 src1_sel:DWORD
	s_movk_i32 s2, 0x2de8
	s_mov_b32 s10, 0xba62
	v_pk_add_f16 v29, v15, v10
	v_mul_f16_sdwa v22, v39, s14 dst_sel:DWORD dst_unused:UNUSED_PAD src0_sel:WORD_1 src1_sel:DWORD
	v_fma_f16 v18, v28, s8, v21
	s_mov_b32 s9, 0xb8d2
	v_fma_f16 v23, v29, s2, v22
	v_add_f16_e32 v17, v17, v0
	v_mul_f16_sdwa v32, v39, s10 dst_sel:DWORD dst_unused:UNUSED_PAD src0_sel:WORD_1 src1_sel:DWORD
	v_pk_add_f16 v45, v11, v14 neg_lo:[0,1] neg_hi:[0,1]
	v_add_f16_e32 v17, v23, v17
	v_add_f16_e32 v18, v18, v0
	v_fma_f16 v23, v29, s9, v32
	v_pk_add_f16 v47, v14, v11
	v_mul_f16_sdwa v30, v45, s10 dst_sel:DWORD dst_unused:UNUSED_PAD src0_sel:WORD_1 src1_sel:DWORD
	s_movk_i32 s16, 0x31e1
	v_add_f16_e32 v18, v23, v18
	v_fma_f16 v23, v47, s9, v30
	s_mov_b32 s17, 0xbbdd
	v_mul_f16_sdwa v33, v45, s16 dst_sel:DWORD dst_unused:UNUSED_PAD src0_sel:WORD_1 src1_sel:DWORD
	s_mov_b32 s18, 0xb1e1
	v_pk_add_f16 v48, v6, v13 neg_lo:[0,1] neg_hi:[0,1]
	v_add_f16_e32 v17, v23, v17
	v_fma_f16 v23, v47, s17, v33
	v_pk_add_f16 v52, v13, v6
	v_mul_f16_sdwa v31, v48, s18 dst_sel:DWORD dst_unused:UNUSED_PAD src0_sel:WORD_1 src1_sel:DWORD
	s_movk_i32 s23, 0x3bb2
	v_add_f16_e32 v18, v23, v18
	v_fma_f16 v23, v52, s17, v31
	s_mov_b32 s16, 0xb461
	v_mul_f16_sdwa v36, v48, s23 dst_sel:DWORD dst_unused:UNUSED_PAD src0_sel:WORD_1 src1_sel:DWORD
	s_movk_i32 s24, 0x3836
	v_pk_add_f16 v49, v7, v12 neg_lo:[0,1] neg_hi:[0,1]
	v_add_f16_e32 v17, v23, v17
	v_fma_f16 v23, v52, s16, v36
	s_mov_b32 s19, 0xbacd
	v_pk_add_f16 v54, v12, v7
	v_mul_f16_sdwa v34, v49, s24 dst_sel:DWORD dst_unused:UNUSED_PAD src0_sel:WORD_1 src1_sel:DWORD
	s_movk_i32 s20, 0x3964
	v_add_f16_e32 v18, v23, v18
	v_fma_f16 v23, v54, s19, v34
	v_mul_f16_sdwa v38, v49, s20 dst_sel:DWORD dst_unused:UNUSED_PAD src0_sel:WORD_1 src1_sel:DWORD
	v_pk_add_f16 v50, v4, v9 neg_lo:[0,1] neg_hi:[0,1]
	v_add_f16_e32 v17, v23, v17
	v_fma_f16 v23, v54, s3, v38
	v_pk_add_f16 v61, v9, v4
	v_mul_f16_sdwa v35, v50, s23 dst_sel:DWORD dst_unused:UNUSED_PAD src0_sel:WORD_1 src1_sel:DWORD
	s_mov_b32 s27, 0xb5c8
	v_add_f16_e32 v18, v23, v18
	v_fma_f16 v23, v61, s16, v35
	s_movk_i32 s21, 0x3b76
	v_mul_f16_sdwa v41, v50, s27 dst_sel:DWORD dst_unused:UNUSED_PAD src0_sel:WORD_1 src1_sel:DWORD
	s_movk_i32 s28, 0x3b29
	v_pk_add_f16 v51, v5, v8 neg_lo:[0,1] neg_hi:[0,1]
	v_add_f16_e32 v17, v23, v17
	v_fma_f16 v23, v61, s21, v41
	v_pk_add_f16 v68, v8, v5
	v_mul_f16_sdwa v37, v51, s28 dst_sel:DWORD dst_unused:UNUSED_PAD src0_sel:WORD_1 src1_sel:DWORD
	v_add_f16_e32 v18, v23, v18
	v_fma_f16 v23, v68, s8, v37
	v_mul_f16_sdwa v42, v51, s14 dst_sel:DWORD dst_unused:UNUSED_PAD src0_sel:WORD_1 src1_sel:DWORD
	s_movk_i32 s25, 0x35c8
	v_pk_add_f16 v60, v2, v3 neg_lo:[0,1] neg_hi:[0,1]
	v_add_f16_e32 v17, v23, v17
	v_fma_f16 v23, v68, s2, v42
	s_mov_b32 s22, 0xb836
	v_pk_add_f16 v72, v3, v2
	v_mul_f16_sdwa v40, v60, s25 dst_sel:DWORD dst_unused:UNUSED_PAD src0_sel:WORD_1 src1_sel:DWORD
	v_add_f16_e32 v23, v23, v18
	v_fma_f16 v18, v72, s21, v40
	v_mul_f16_sdwa v46, v60, s22 dst_sel:DWORD dst_unused:UNUSED_PAD src0_sel:WORD_1 src1_sel:DWORD
	s_mov_b32 s26, 0xbbb2
	v_add_f16_e32 v18, v18, v17
	v_fma_f16 v17, v72, s19, v46
	v_mul_f16_sdwa v62, v27, s26 dst_sel:DWORD dst_unused:UNUSED_PAD src0_sel:WORD_1 src1_sel:DWORD
	v_add_f16_e32 v17, v17, v23
	v_fma_f16 v23, v28, s16, v62
	v_mul_f16_sdwa v63, v39, s24 dst_sel:DWORD dst_unused:UNUSED_PAD src0_sel:WORD_1 src1_sel:DWORD
	;; [unrolled: 3-line block ×9, first 2 shown]
	s_movk_i32 s29, 0x3bf7
	v_add_f16_e32 v24, v25, v24
	v_fma_f16 v25, v54, s17, v70
	v_mul_f16_sdwa v82, v49, s29 dst_sel:DWORD dst_unused:UNUSED_PAD src0_sel:WORD_1 src1_sel:DWORD
	v_add_f16_e32 v23, v25, v23
	v_fma_f16 v25, v54, s2, v82
	v_mul_f16_sdwa v71, v50, s29 dst_sel:DWORD dst_unused:UNUSED_PAD src0_sel:WORD_1 src1_sel:DWORD
	;; [unrolled: 3-line block ×10, first 2 shown]
	s_movk_i32 s24, 0x3a62
	v_add_f16_e32 v25, v26, v25
	v_fma_f16 v26, v47, s2, v58
	v_mul_f16_sdwa v59, v48, s24 dst_sel:DWORD dst_unused:UNUSED_PAD src0_sel:WORD_1 src1_sel:DWORD
	v_add_f16_e32 v25, v26, v25
	v_fma_f16 v26, v52, s9, v59
	v_mul_f16_sdwa v66, v49, s27 dst_sel:DWORD dst_unused:UNUSED_PAD src0_sel:WORD_1 src1_sel:DWORD
	;; [unrolled: 3-line block ×4, first 2 shown]
	v_add_f16_e32 v25, v26, v25
	v_fma_f16 v26, v68, s3, v116
	v_pk_mul_f16 v80, v27, s18 op_sel_hi:[1,0]
	v_add_f16_e32 v25, v26, v25
	v_pk_fma_f16 v26, v28, s17, v80 op_sel:[0,0,1] op_sel_hi:[1,0,0]
	v_pk_mul_f16 v85, v39, s25 op_sel_hi:[1,0]
	v_pk_add_f16 v26, v26, v0
	v_pk_fma_f16 v56, v29, s21, v85 op_sel:[0,0,1] op_sel_hi:[1,0,0]
	v_pk_mul_f16 v87, v45, s22 op_sel_hi:[1,0]
	v_pk_add_f16 v26, v56, v26
	;; [unrolled: 3-line block ×6, first 2 shown]
	v_pk_fma_f16 v56, v68, s16, v119 op_sel:[0,0,1] op_sel_hi:[1,0,0]
	v_mul_f16_sdwa v151, v60, s26 dst_sel:DWORD dst_unused:UNUSED_PAD src0_sel:WORD_1 src1_sel:DWORD
	v_pk_add_f16 v56, v56, v26
	v_fma_f16 v26, v72, s16, v151
	v_pk_mul_f16 v152, v60, s29 op_sel_hi:[1,0]
	v_add_f16_e32 v26, v26, v25
	v_pk_fma_f16 v25, v72, s2, v152 op_sel:[0,0,1] op_sel_hi:[1,0,0]
	v_pk_add_f16 v25, v25, v56
	v_mul_f16_sdwa v56, v27, s27 dst_sel:DWORD dst_unused:UNUSED_PAD src0_sel:WORD_1 src1_sel:DWORD
	v_fma_f16 v57, v28, s21, v56
	v_add_f16_e32 v64, v57, v0
	v_mul_f16_sdwa v57, v39, s15 dst_sel:DWORD dst_unused:UNUSED_PAD src0_sel:WORD_1 src1_sel:DWORD
	v_fma_f16 v65, v29, s3, v57
	v_add_f16_e32 v90, v65, v64
	v_lshrrev_b32_e32 v126, 16, v28
	v_mul_f16_e32 v64, 0xb5c8, v27
	v_fma_f16 v65, v126, s21, -v64
	v_add_f16_sdwa v77, v65, v0 dst_sel:DWORD dst_unused:UNUSED_PAD src0_sel:DWORD src1_sel:WORD_1
	v_lshrrev_b32_e32 v124, 16, v29
	v_mul_f16_e32 v65, 0xb964, v39
	v_fma_f16 v79, v124, s3, -v65
	v_add_f16_e32 v91, v79, v77
	v_mul_f16_e32 v77, 0xb964, v27
	v_fma_f16 v79, v126, s3, -v77
	v_add_f16_sdwa v88, v79, v0 dst_sel:DWORD dst_unused:UNUSED_PAD src0_sel:DWORD src1_sel:WORD_1
	v_mul_f16_e32 v79, 0xbbf7, v39
	v_fma_f16 v89, v124, s2, -v79
	v_add_f16_e32 v97, v89, v88
	v_mul_f16_e32 v88, 0xbb29, v27
	v_fma_f16 v89, v126, s8, -v88
	v_add_f16_sdwa v92, v89, v0 dst_sel:DWORD dst_unused:UNUSED_PAD src0_sel:DWORD src1_sel:WORD_1
	v_mul_f16_e32 v89, 0xba62, v39
	v_fma_f16 v93, v124, s9, -v89
	v_add_f16_e32 v98, v93, v92
	v_mul_f16_sdwa v92, v27, s14 dst_sel:DWORD dst_unused:UNUSED_PAD src0_sel:WORD_1 src1_sel:DWORD
	v_fma_f16 v93, v28, s2, v92
	v_add_f16_e32 v95, v93, v0
	v_mul_f16_sdwa v93, v39, s18 dst_sel:DWORD dst_unused:UNUSED_PAD src0_sel:WORD_1 src1_sel:DWORD
	v_fma_f16 v96, v29, s17, v93
	v_add_f16_e32 v102, v96, v95
	v_mul_f16_e32 v95, 0xbbf7, v27
	v_fma_f16 v96, v126, s2, -v95
	v_add_f16_sdwa v99, v96, v0 dst_sel:DWORD dst_unused:UNUSED_PAD src0_sel:DWORD src1_sel:WORD_1
	v_mul_f16_e32 v96, 0xb1e1, v39
	v_fma_f16 v101, v124, s17, -v96
	v_mul_f16_e32 v103, 0xbbb2, v27
	v_add_f16_e32 v105, v101, v99
	v_fma_f16 v99, v126, s16, -v103
	v_mul_f16_e32 v104, 0x3836, v39
	v_add_f16_sdwa v99, v99, v0 dst_sel:DWORD dst_unused:UNUSED_PAD src0_sel:DWORD src1_sel:WORD_1
	v_fma_f16 v101, v124, s19, -v104
	v_mul_f16_e32 v113, 0xba62, v27
	v_fma_f16 v53, v28, s19, -v53
	v_add_f16_e32 v106, v101, v99
	v_fma_f16 v99, v126, s9, -v113
	v_mul_f16_e32 v114, 0x3bb2, v39
	v_fma_f16 v55, v29, s8, -v55
	v_add_f16_e32 v53, v53, v0
	v_mul_f16_e32 v27, 0xb836, v27
	v_add_f16_sdwa v99, v99, v0 dst_sel:DWORD dst_unused:UNUSED_PAD src0_sel:DWORD src1_sel:WORD_1
	v_fma_f16 v101, v124, s16, -v114
	v_add_f16_e32 v53, v55, v53
	v_mul_f16_e32 v39, 0x3b29, v39
	v_fma_f16 v55, v126, s19, v27
	v_fma_f16 v27, v126, s19, -v27
	v_add_f16_e32 v109, v101, v99
	v_fma_f16 v99, v124, s8, v39
	v_fma_f16 v39, v124, s8, -v39
	v_add_f16_sdwa v27, v27, v0 dst_sel:DWORD dst_unused:UNUSED_PAD src0_sel:DWORD src1_sel:WORD_1
	v_add_f16_e32 v27, v39, v27
	v_pk_fma_f16 v39, v28, s17, v80 op_sel:[0,0,1] op_sel_hi:[1,0,0] neg_lo:[0,0,1] neg_hi:[0,0,1]
	v_pk_add_f16 v39, v39, v0
	v_pk_fma_f16 v80, v29, s21, v85 op_sel:[0,0,1] op_sel_hi:[1,0,0] neg_lo:[0,0,1] neg_hi:[0,0,1]
	v_pk_add_f16 v39, v80, v39
	v_mul_f16_sdwa v80, v45, s11 dst_sel:DWORD dst_unused:UNUSED_PAD src0_sel:WORD_1 src1_sel:DWORD
	v_fma_f16 v85, v47, s8, v80
	v_add_f16_sdwa v55, v55, v0 dst_sel:DWORD dst_unused:UNUSED_PAD src0_sel:DWORD src1_sel:WORD_1
	v_add_f16_e32 v90, v85, v90
	v_lshrrev_b32_e32 v134, 16, v47
	v_mul_f16_e32 v85, 0xbb29, v45
	v_add_f16_e32 v55, v99, v55
	v_fma_f16 v99, v134, s8, -v85
	v_add_f16_e32 v111, v99, v91
	v_mul_f16_e32 v91, 0xba62, v45
	v_fma_f16 v99, v134, s9, -v91
	v_add_f16_e32 v97, v99, v97
	v_mul_f16_e32 v99, 0x31e1, v45
	v_fma_f16 v101, v134, s17, -v99
	v_add_f16_e32 v112, v101, v98
	v_mul_f16_sdwa v101, v45, s23 dst_sel:DWORD dst_unused:UNUSED_PAD src0_sel:WORD_1 src1_sel:DWORD
	v_fma_f16 v98, v47, s16, v101
	v_mul_f16_e32 v107, 0x3bb2, v45
	v_mul_f16_e32 v117, 0x3964, v45
	v_mul_f16_e32 v125, 0xb5c8, v45
	v_fma_f16 v58, v47, s2, -v58
	v_mul_f16_e32 v45, 0xbbf7, v45
	v_add_f16_e32 v102, v98, v102
	v_fma_f16 v98, v134, s16, -v107
	v_add_f16_e32 v53, v58, v53
	v_fma_f16 v58, v134, s2, v45
	v_fma_f16 v45, v134, s2, -v45
	v_add_f16_e32 v105, v98, v105
	v_fma_f16 v98, v134, s3, -v117
	v_add_f16_e32 v27, v45, v27
	v_pk_fma_f16 v45, v47, s19, v87 op_sel:[0,0,1] op_sel_hi:[1,0,0] neg_lo:[0,0,1] neg_hi:[0,0,1]
	v_mul_f16_sdwa v87, v48, s14 dst_sel:DWORD dst_unused:UNUSED_PAD src0_sel:WORD_1 src1_sel:DWORD
	v_add_f16_e32 v118, v98, v106
	v_fma_f16 v98, v134, s21, -v125
	v_pk_add_f16 v39, v45, v39
	v_fma_f16 v45, v52, s2, v87
	v_add_f16_e32 v120, v98, v109
	v_add_f16_e32 v45, v45, v90
	v_lshrrev_b32_e32 v139, 16, v52
	v_mul_f16_e32 v90, 0xbbf7, v48
	v_mul_f16_e32 v98, 0xb1e1, v48
	v_add_f16_e32 v55, v58, v55
	v_fma_f16 v58, v139, s2, -v90
	v_fma_f16 v106, v139, s17, -v98
	v_add_f16_e32 v58, v58, v111
	v_add_f16_e32 v111, v106, v97
	v_mul_f16_e32 v106, 0x3bb2, v48
	v_fma_f16 v97, v139, s16, -v106
	v_mul_f16_sdwa v109, v48, s25 dst_sel:DWORD dst_unused:UNUSED_PAD src0_sel:WORD_1 src1_sel:DWORD
	v_add_f16_e32 v121, v97, v112
	v_fma_f16 v97, v52, s21, v109
	v_mul_f16_e32 v115, 0x35c8, v48
	v_add_f16_e32 v102, v97, v102
	v_fma_f16 v97, v139, s21, -v115
	v_mul_f16_e32 v123, 0xbb29, v48
	v_mul_f16_e32 v132, 0xb836, v48
	v_fma_f16 v59, v52, s9, -v59
	v_mul_f16_e32 v48, 0x3a62, v48
	v_add_f16_e32 v127, v97, v105
	v_fma_f16 v97, v139, s8, -v123
	v_add_f16_e32 v53, v59, v53
	v_fma_f16 v59, v139, s9, v48
	v_fma_f16 v48, v139, s9, -v48
	v_add_f16_e32 v128, v97, v118
	v_fma_f16 v97, v139, s19, -v132
	v_add_f16_e32 v27, v48, v27
	v_pk_fma_f16 v48, v52, s3, v94 op_sel:[0,0,1] op_sel_hi:[1,0,0] neg_lo:[0,0,1] neg_hi:[0,0,1]
	v_mul_f16_sdwa v94, v49, s26 dst_sel:DWORD dst_unused:UNUSED_PAD src0_sel:WORD_1 src1_sel:DWORD
	v_add_f16_e32 v120, v97, v120
	v_pk_add_f16 v39, v48, v39
	v_fma_f16 v48, v54, s16, v94
	v_lshrrev_b32_e32 v142, 16, v54
	v_mul_f16_e32 v97, 0xbbb2, v49
	v_add_f16_e32 v45, v48, v45
	v_fma_f16 v48, v142, s16, -v97
	v_mul_f16_e32 v105, 0x3836, v49
	v_add_f16_e32 v48, v48, v58
	v_fma_f16 v58, v142, s19, -v105
	v_mul_f16_sdwa v118, v49, s11 dst_sel:DWORD dst_unused:UNUSED_PAD src0_sel:WORD_1 src1_sel:DWORD
	v_add_f16_e32 v58, v58, v111
	v_fma_f16 v111, v54, s8, v118
	v_mul_f16_e32 v122, 0xbb29, v49
	v_mul_f16_e32 v112, 0x3964, v49
	v_add_f16_e32 v129, v111, v102
	v_fma_f16 v102, v142, s8, -v122
	v_mul_f16_e32 v131, 0xb1e1, v49
	v_mul_f16_e32 v138, 0x3bf7, v49
	v_fma_f16 v66, v54, s21, -v66
	v_mul_f16_e32 v49, 0xb5c8, v49
	v_add_f16_e32 v133, v102, v127
	v_fma_f16 v102, v142, s17, -v131
	v_add_f16_e32 v53, v66, v53
	v_fma_f16 v66, v142, s21, v49
	v_fma_f16 v49, v142, s21, -v49
	v_add_f16_e32 v128, v102, v128
	v_fma_f16 v102, v142, s2, -v138
	v_add_f16_e32 v27, v49, v27
	v_pk_fma_f16 v49, v54, s9, v100 op_sel:[0,0,1] op_sel_hi:[1,0,0] neg_lo:[0,0,1] neg_hi:[0,0,1]
	v_mul_f16_sdwa v100, v50, s10 dst_sel:DWORD dst_unused:UNUSED_PAD src0_sel:WORD_1 src1_sel:DWORD
	v_add_f16_e32 v120, v102, v120
	v_pk_add_f16 v39, v49, v39
	v_fma_f16 v49, v61, s9, v100
	v_lshrrev_b32_e32 v145, 16, v61
	v_mul_f16_e32 v102, 0xba62, v50
	v_add_f16_e32 v55, v59, v55
	v_fma_f16 v59, v142, s3, -v112
	v_add_f16_e32 v45, v49, v45
	v_fma_f16 v49, v145, s9, -v102
	v_mul_f16_e32 v111, 0x3bb2, v50
	v_add_f16_e32 v59, v59, v121
	v_add_f16_e32 v48, v49, v48
	v_fma_f16 v49, v145, s16, -v111
	v_mul_f16_e32 v121, 0xb5c8, v50
	v_add_f16_e32 v49, v49, v58
	v_fma_f16 v58, v145, s21, -v121
	v_mul_f16_sdwa v127, v50, s22 dst_sel:DWORD dst_unused:UNUSED_PAD src0_sel:WORD_1 src1_sel:DWORD
	v_mul_f16_e32 v130, 0xb836, v50
	v_mul_f16_e32 v137, 0x3bf7, v50
	;; [unrolled: 1-line block ×3, first 2 shown]
	v_fma_f16 v108, v61, s17, -v108
	v_mul_f16_e32 v50, 0xb1e1, v50
	v_add_f16_e32 v55, v66, v55
	v_add_f16_e32 v58, v58, v59
	v_fma_f16 v59, v61, s19, v127
	v_add_f16_e32 v53, v108, v53
	v_fma_f16 v108, v145, s17, v50
	v_fma_f16 v50, v145, s17, -v50
	v_add_f16_e32 v59, v59, v129
	v_fma_f16 v129, v145, s2, -v137
	v_add_f16_e32 v55, v108, v55
	v_add_f16_e32 v27, v50, v27
	v_pk_fma_f16 v50, v61, s8, v110 op_sel:[0,0,1] op_sel_hi:[1,0,0] neg_lo:[0,0,1] neg_hi:[0,0,1]
	v_mul_f16_sdwa v108, v51, s22 dst_sel:DWORD dst_unused:UNUSED_PAD src0_sel:WORD_1 src1_sel:DWORD
	v_add_f16_e32 v128, v129, v128
	v_fma_f16 v129, v145, s3, -v144
	v_pk_add_f16 v39, v50, v39
	v_fma_f16 v50, v68, s19, v108
	v_lshrrev_b32_e32 v148, 16, v68
	v_mul_f16_e32 v110, 0xb836, v51
	v_add_f16_e32 v135, v129, v120
	v_add_f16_e32 v45, v50, v45
	v_fma_f16 v50, v148, s19, -v110
	v_mul_f16_e32 v120, 0x3b29, v51
	v_fma_f16 v66, v145, s19, -v130
	v_add_f16_e32 v48, v50, v48
	v_fma_f16 v50, v148, s8, -v120
	v_mul_f16_e32 v129, 0xbbf7, v51
	v_add_f16_e32 v66, v66, v133
	v_add_f16_e32 v49, v50, v49
	v_fma_f16 v50, v148, s2, -v129
	v_mul_f16_sdwa v133, v51, s24 dst_sel:DWORD dst_unused:UNUSED_PAD src0_sel:WORD_1 src1_sel:DWORD
	v_add_f16_e32 v50, v50, v58
	v_fma_f16 v58, v68, s9, v133
	v_mul_f16_e32 v136, 0x3a62, v51
	v_mul_f16_e32 v143, 0xb5c8, v51
	;; [unrolled: 1-line block ×3, first 2 shown]
	v_fma_f16 v116, v68, s3, -v116
	v_mul_f16_e32 v51, 0x3964, v51
	v_add_f16_e32 v58, v58, v59
	v_fma_f16 v59, v148, s9, -v136
	v_add_f16_e32 v154, v116, v53
	v_fma_f16 v53, v148, s3, v51
	v_fma_f16 v51, v148, s3, -v51
	v_add_f16_e32 v59, v59, v66
	v_fma_f16 v66, v148, s21, -v143
	v_add_f16_e32 v27, v51, v27
	v_pk_fma_f16 v51, v68, s16, v119 op_sel:[0,0,1] op_sel_hi:[1,0,0] neg_lo:[0,0,1] neg_hi:[0,0,1]
	v_mul_f16_sdwa v116, v60, s18 dst_sel:DWORD dst_unused:UNUSED_PAD src0_sel:WORD_1 src1_sel:DWORD
	v_add_f16_e32 v66, v66, v128
	v_fma_f16 v128, v148, s17, -v147
	v_pk_add_f16 v156, v51, v39
	v_fma_f16 v39, v72, s17, v116
	v_lshrrev_b32_e32 v149, 16, v72
	v_mul_f16_e32 v119, 0xb1e1, v60
	v_add_f16_e32 v153, v128, v135
	v_add_f16_e32 v51, v39, v45
	v_fma_f16 v39, v149, s17, -v119
	v_mul_f16_e32 v128, 0x35c8, v60
	v_add_f16_e32 v48, v39, v48
	v_fma_f16 v39, v149, s21, -v128
	v_mul_f16_e32 v135, 0xb836, v60
	v_add_f16_e32 v49, v39, v49
	v_fma_f16 v39, v149, s19, -v135
	v_mul_f16_sdwa v140, v60, s20 dst_sel:DWORD dst_unused:UNUSED_PAD src0_sel:WORD_1 src1_sel:DWORD
	v_add_f16_e32 v50, v39, v50
	v_fma_f16 v39, v72, s3, v140
	v_mul_f16_e32 v141, 0x3964, v60
	v_add_f16_e32 v155, v53, v55
	v_add_f16_e32 v53, v39, v58
	v_fma_f16 v39, v149, s3, -v141
	v_mul_f16_e32 v146, 0xba62, v60
	v_add_f16_e32 v55, v39, v59
	v_fma_f16 v39, v149, s9, -v146
	v_mul_f16_e32 v150, 0x3b29, v60
	;; [unrolled: 3-line block ×3, first 2 shown]
	s_load_dwordx2 s[8:9], s[4:5], 0x20
	s_nop 0
	s_load_dwordx2 s[4:5], s[4:5], 0x8
	v_add_f16_e32 v59, v39, v153
	v_fma_f16 v39, v149, s16, v45
	v_fma_f16 v45, v149, s16, -v45
	v_add_f16_e32 v60, v45, v27
	v_pk_fma_f16 v27, v72, s2, v152 op_sel:[0,0,1] op_sel_hi:[1,0,0] neg_lo:[0,0,1] neg_hi:[0,0,1]
	v_pk_add_f16 v66, v27, v156
	v_fma_f16 v27, v72, s16, -v151
	v_add_f16_e32 v39, v39, v155
	v_add_f16_e32 v27, v27, v154
	v_mul_lo_u16_e32 v45, 17, v44
	s_waitcnt lgkmcnt(0)
	s_barrier
	s_and_saveexec_b64 s[2:3], s[0:1]
	s_cbranch_execz .LBB0_7
; %bb.6:
	v_mul_f16_e32 v151, 0x3b76, v28
	v_mul_f16_e32 v153, 0x39e9, v28
	;; [unrolled: 1-line block ×12, first 2 shown]
	v_sub_f16_e32 v28, v28, v75
	v_mul_f16_e32 v171, 0x3722, v47
	v_mul_f16_e32 v173, 0xb8d2, v47
	v_mul_f16_e32 v175, 0xbbdd, v47
	v_mul_f16_e32 v177, 0xb461, v47
	v_mul_f16_e32 v179, 0x39e9, v47
	v_mul_f16_e32 v47, 0x3b76, v47
	v_add_f16_e32 v28, v28, v0
	v_sub_f16_e32 v29, v29, v76
	v_mul_f16_e32 v181, 0x2de8, v52
	v_mul_f16_e32 v183, 0xbbdd, v52
	v_mul_f16_e32 v185, 0xb461, v52
	v_mul_f16_e32 v187, 0x3b76, v52
	v_mul_f16_e32 v189, 0x3722, v52
	v_mul_f16_e32 v52, 0xbacd, v52
	v_add_f16_e32 v28, v29, v28
	;; [unrolled: 8-line block ×6, first 2 shown]
	v_sub_f16_e32 v29, v68, v84
	v_mul_f16_e32 v160, 0xb461, v126
	v_add_f16_e32 v28, v29, v28
	v_sub_f16_e32 v29, v72, v86
	v_mul_f16_e32 v170, 0xbacd, v124
	v_add_f16_e32 v28, v29, v28
	v_add_f16_e32 v29, v103, v160
	v_mul_f16_e32 v180, 0x39e9, v134
	v_add_f16_sdwa v29, v29, v0 dst_sel:DWORD dst_unused:UNUSED_PAD src0_sel:DWORD src1_sel:WORD_1
	v_add_f16_e32 v47, v104, v170
	v_mul_f16_e32 v190, 0x3722, v139
	v_add_f16_e32 v29, v47, v29
	v_add_f16_e32 v47, v117, v180
	v_mul_f16_e32 v200, 0xbbdd, v142
	v_add_f16_e32 v29, v47, v29
	;; [unrolled: 3-line block ×5, first 2 shown]
	v_add_f16_e32 v47, v143, v220
	v_add_f16_e32 v29, v47, v29
	;; [unrolled: 1-line block ×4, first 2 shown]
	v_sub_f16_e32 v47, v159, v62
	v_add_f16_e32 v47, v47, v0
	v_sub_f16_e32 v52, v169, v63
	v_add_f16_e32 v47, v52, v47
	;; [unrolled: 2-line block ×6, first 2 shown]
	v_sub_f16_e32 v52, v219, v73
	v_mul_f16_e32 v158, 0x2de8, v126
	v_add_f16_e32 v47, v52, v47
	v_sub_f16_e32 v52, v229, v74
	v_mul_f16_e32 v168, 0xbbdd, v124
	v_add_f16_e32 v47, v52, v47
	v_add_f16_e32 v52, v95, v158
	v_sub_f16_e32 v20, v153, v20
	v_mul_f16_e32 v178, 0xb461, v134
	v_add_f16_sdwa v52, v52, v0 dst_sel:DWORD dst_unused:UNUSED_PAD src0_sel:DWORD src1_sel:WORD_1
	v_add_f16_e32 v54, v96, v168
	v_add_f16_e32 v20, v20, v0
	v_sub_f16_e32 v22, v163, v22
	v_mul_f16_e32 v188, 0x3b76, v139
	v_add_f16_e32 v52, v54, v52
	v_add_f16_e32 v54, v107, v178
	v_add_f16_e32 v20, v22, v20
	v_sub_f16_e32 v22, v173, v30
	v_mul_f16_e32 v198, 0x3722, v142
	v_add_f16_e32 v52, v54, v52
	v_add_f16_e32 v54, v115, v188
	v_add_f16_e32 v20, v22, v20
	v_sub_f16_e32 v22, v183, v31
	v_mul_f16_e32 v208, 0xbacd, v145
	v_add_f16_e32 v52, v54, v52
	v_add_f16_e32 v54, v122, v198
	v_add_f16_e32 v20, v22, v20
	v_sub_f16_e32 v22, v193, v34
	v_mul_f16_e32 v218, 0xb8d2, v148
	v_add_f16_e32 v52, v54, v52
	v_add_f16_e32 v54, v130, v208
	v_add_f16_e32 v20, v22, v20
	v_sub_f16_e32 v22, v203, v35
	v_mul_f16_e32 v228, 0x39e9, v149
	v_add_f16_e32 v52, v54, v52
	v_add_f16_e32 v54, v136, v218
	v_add_f16_e32 v20, v22, v20
	v_sub_f16_e32 v22, v213, v37
	v_mul_f16_e32 v152, 0x3b76, v126
	v_add_f16_e32 v52, v54, v52
	v_add_f16_e32 v54, v141, v228
	v_add_f16_e32 v20, v22, v20
	v_sub_f16_e32 v22, v223, v40
	v_mul_f16_e32 v162, 0x39e9, v124
	v_add_f16_e32 v52, v54, v52
	v_sub_f16_e32 v54, v157, v92
	v_sub_f16_e32 v21, v155, v21
	v_add_f16_e32 v20, v22, v20
	v_add_f16_e32 v22, v64, v152
	v_mul_f16_e32 v172, 0x3722, v134
	v_add_f16_e32 v54, v54, v0
	v_sub_f16_e32 v61, v167, v93
	v_add_f16_e32 v21, v21, v0
	v_sub_f16_e32 v32, v165, v32
	v_add_f16_sdwa v22, v22, v0 dst_sel:DWORD dst_unused:UNUSED_PAD src0_sel:DWORD src1_sel:WORD_1
	v_add_f16_e32 v30, v65, v162
	v_mul_f16_e32 v182, 0x2de8, v139
	v_add_f16_e32 v54, v61, v54
	v_sub_f16_e32 v61, v177, v101
	v_add_f16_e32 v21, v32, v21
	v_sub_f16_e32 v32, v175, v33
	v_add_f16_e32 v22, v30, v22
	v_add_f16_e32 v30, v85, v172
	v_mul_f16_e32 v192, 0xb461, v142
	v_add_f16_e32 v54, v61, v54
	v_sub_f16_e32 v61, v187, v109
	v_add_f16_e32 v21, v32, v21
	v_sub_f16_e32 v32, v185, v36
	v_add_f16_e32 v22, v30, v22
	;; [unrolled: 7-line block ×5, first 2 shown]
	v_add_f16_e32 v30, v110, v212
	v_mul_f16_e32 v154, 0x39e9, v126
	v_mul_f16_e32 v156, 0x3722, v126
	;; [unrolled: 1-line block ×3, first 2 shown]
	v_add_f16_e32 v54, v61, v54
	v_sub_f16_e32 v61, v227, v140
	v_add_f16_e32 v21, v32, v21
	v_sub_f16_e32 v32, v225, v46
	v_add_f16_e32 v22, v30, v22
	v_add_f16_e32 v30, v119, v222
	;; [unrolled: 1-line block ×8, first 2 shown]
	v_sub_f16_e32 v30, v151, v56
	v_add_f16_sdwa v113, v113, v0 dst_sel:DWORD dst_unused:UNUSED_PAD src0_sel:DWORD src1_sel:WORD_1
	v_add_f16_sdwa v61, v61, v0 dst_sel:DWORD dst_unused:UNUSED_PAD src0_sel:DWORD src1_sel:WORD_1
	;; [unrolled: 1-line block ×3, first 2 shown]
	v_add_f16_e32 v30, v30, v0
	v_pk_add_f16 v0, v1, v0
	v_pk_add_f16 v0, v10, v0
	;; [unrolled: 1-line block ×7, first 2 shown]
	v_mul_f16_e32 v164, 0x2de8, v124
	v_mul_f16_e32 v166, 0xb8d2, v124
	v_sub_f16_e32 v31, v161, v57
	v_pk_add_f16 v0, v2, v0
	v_mul_f16_e32 v174, 0xb8d2, v134
	v_mul_f16_e32 v176, 0xbbdd, v134
	v_add_f16_e32 v62, v89, v166
	v_add_f16_e32 v33, v79, v164
	;; [unrolled: 1-line block ×3, first 2 shown]
	v_sub_f16_e32 v31, v171, v80
	v_pk_add_f16 v0, v3, v0
	v_mul_f16_e32 v124, 0xb461, v124
	v_mul_f16_e32 v184, 0xbbdd, v139
	;; [unrolled: 1-line block ×3, first 2 shown]
	v_add_f16_e32 v61, v62, v61
	v_add_f16_e32 v62, v99, v176
	;; [unrolled: 1-line block ×5, first 2 shown]
	v_sub_f16_e32 v31, v181, v87
	v_pk_add_f16 v0, v8, v0
	v_mul_f16_e32 v134, 0x3b76, v134
	v_mul_f16_e32 v194, 0xbacd, v142
	;; [unrolled: 1-line block ×3, first 2 shown]
	v_add_f16_e32 v114, v114, v124
	v_add_f16_e32 v61, v62, v61
	v_add_f16_e32 v62, v106, v186
	v_add_f16_e32 v32, v33, v32
	v_add_f16_e32 v33, v98, v184
	v_add_f16_e32 v30, v31, v30
	v_sub_f16_e32 v31, v191, v94
	v_pk_add_f16 v0, v9, v0
	v_mul_f16_e32 v139, 0xbacd, v139
	v_mul_f16_e32 v204, 0xb461, v145
	v_mul_f16_e32 v206, 0x3b76, v145
	v_add_f16_e32 v113, v114, v113
	v_add_f16_e32 v114, v125, v134
	v_add_f16_e32 v61, v62, v61
	v_add_f16_e32 v62, v112, v196
	v_add_f16_e32 v32, v33, v32
	v_add_f16_e32 v33, v105, v194
	v_add_f16_e32 v30, v31, v30
	v_sub_f16_e32 v31, v201, v100
	v_pk_add_f16 v0, v12, v0
	v_mul_f16_e32 v142, 0x2de8, v142
	v_mul_f16_e32 v214, 0x3722, v148
	v_mul_f16_e32 v216, 0x2de8, v148
	v_add_f16_e32 v113, v114, v113
	;; [unrolled: 12-line block ×3, first 2 shown]
	v_add_f16_e32 v114, v138, v142
	v_add_f16_e32 v61, v62, v61
	;; [unrolled: 1-line block ×6, first 2 shown]
	v_sub_f16_e32 v31, v221, v116
	v_pk_add_f16 v0, v14, v0
	v_mul_f16_e32 v148, 0xbbdd, v148
	v_add_f16_e32 v113, v114, v113
	v_add_f16_e32 v114, v144, v145
	;; [unrolled: 1-line block ×7, first 2 shown]
	v_pk_add_f16 v0, v15, v0
	v_mul_f16_e32 v149, 0x3722, v149
	v_add_f16_e32 v113, v114, v113
	v_add_f16_e32 v114, v147, v148
	;; [unrolled: 1-line block ×4, first 2 shown]
	v_lshlrev_b32_e32 v1, 2, v45
	v_pk_add_f16 v0, v19, v0
	v_pack_b32_f16 v2, v30, v22
	v_add_f16_e32 v113, v114, v113
	v_add_f16_e32 v114, v150, v149
	ds_write2_b32 v1, v0, v2 offset1:1
	v_pack_b32_f16 v0, v21, v61
	v_pack_b32_f16 v2, v20, v32
	v_add_f16_e32 v113, v114, v113
	ds_write2_b32 v1, v2, v0 offset0:2 offset1:3
	v_pack_b32_f16 v0, v47, v29
	v_pack_b32_f16 v2, v54, v52
	s_mov_b32 s10, 0x5040100
	ds_write2_b32 v1, v2, v0 offset0:4 offset1:5
	v_pack_b32_f16 v0, v28, v113
	v_perm_b32 v2, v39, v27, s10
	s_mov_b32 s11, 0xffff
	ds_write2_b32 v1, v0, v2 offset0:6 offset1:7
	v_bfi_b32 v0, s11, v25, v66
	v_bfi_b32 v2, s11, v66, v25
	ds_write2_b32 v1, v2, v0 offset0:8 offset1:9
	v_perm_b32 v0, v59, v23, s10
	v_perm_b32 v2, v60, v26, s10
	ds_write2_b32 v1, v2, v0 offset0:10 offset1:11
	v_perm_b32 v0, v55, v53, s10
	v_perm_b32 v2, v58, v24, s10
	;; [unrolled: 3-line block ×3, first 2 shown]
	ds_write2_b32 v1, v2, v0 offset0:14 offset1:15
	v_perm_b32 v0, v48, v51, s10
	ds_write_b32 v1, v0 offset:64
.LBB0_7:
	s_or_b64 exec, exec, s[2:3]
	v_add_u32_e32 v0, 0x400, v43
	s_waitcnt lgkmcnt(0)
	s_barrier
	ds_read2_b32 v[10:11], v0 offset0:50 offset1:203
	v_add_u32_e32 v0, 0x800, v43
	ds_read2_b32 v[8:9], v43 offset1:153
	ds_read2_b32 v[12:13], v0 offset0:100 offset1:253
	ds_read_b32 v14, v43 offset:3672
	v_cmp_gt_u16_e64 s[2:3], 34, v44
	v_lshrrev_b32_e32 v15, 16, v25
	s_and_saveexec_b64 s[10:11], s[2:3]
	s_cbranch_execz .LBB0_9
; %bb.8:
	v_add_u32_e32 v0, 0x100, v43
	ds_read2_b32 v[27:28], v0 offset0:55 offset1:208
	v_add_u32_e32 v0, 0x600, v43
	v_add_u32_e32 v1, 0xa00, v43
	ds_read2_b32 v[25:26], v0 offset0:41 offset1:194
	ds_read2_b32 v[23:24], v1 offset0:91 offset1:244
	ds_read_b32 v53, v43 offset:4148
	s_mov_b32 s14, 0xffff
	s_waitcnt lgkmcnt(3)
	v_lshrrev_b32_e32 v39, 16, v27
	v_lshrrev_b32_e32 v15, 16, v28
	s_waitcnt lgkmcnt(2)
	v_lshrrev_b32_e32 v60, 16, v26
	s_waitcnt lgkmcnt(1)
	v_lshrrev_b32_e32 v59, 16, v23
	v_lshrrev_b32_e32 v58, 16, v24
	s_waitcnt lgkmcnt(0)
	v_lshrrev_b32_e32 v55, 16, v53
	v_bfi_b32 v66, s14, v28, v25
.LBB0_9:
	s_or_b64 exec, exec, s[10:11]
	s_movk_i32 s10, 0xf1
	v_mul_lo_u16_sdwa v0, v44, s10 dst_sel:DWORD dst_unused:UNUSED_PAD src0_sel:BYTE_0 src1_sel:DWORD
	v_lshrrev_b16_e32 v29, 12, v0
	v_add_u16_e32 v1, 0x77, v44
	v_mul_lo_u16_e32 v0, 17, v29
	v_mul_lo_u16_sdwa v2, v1, s10 dst_sel:DWORD dst_unused:UNUSED_PAD src0_sel:BYTE_0 src1_sel:DWORD
	v_sub_u16_e32 v0, v44, v0
	v_lshrrev_b16_e32 v46, 12, v2
	v_and_b32_e32 v30, 0xff, v0
	v_mul_lo_u16_e32 v2, 17, v46
	v_mul_u32_u24_e32 v0, 6, v30
	v_sub_u16_e32 v1, v1, v2
	v_lshlrev_b32_e32 v0, 2, v0
	v_and_b32_e32 v47, 0xff, v1
	global_load_dwordx4 v[4:7], v0, s[4:5]
	global_load_dwordx2 v[21:22], v0, s[4:5] offset:16
	v_mul_u32_u24_e32 v0, 6, v47
	v_lshlrev_b32_e32 v28, 2, v0
	global_load_dwordx4 v[0:3], v28, s[4:5]
	global_load_dwordx2 v[19:20], v28, s[4:5] offset:16
	s_waitcnt lgkmcnt(2)
	v_lshrrev_b32_e32 v28, 16, v9
	v_lshrrev_b32_e32 v31, 16, v10
	s_waitcnt lgkmcnt(1)
	v_lshrrev_b32_e32 v34, 16, v13
	s_waitcnt lgkmcnt(0)
	v_lshrrev_b32_e32 v35, 16, v14
	v_lshrrev_b32_e32 v32, 16, v11
	;; [unrolled: 1-line block ×3, first 2 shown]
	s_movk_i32 s14, 0x2b26
	s_movk_i32 s15, 0x3b00
	s_mov_b32 s16, 0xbcab
	s_movk_i32 s17, 0x39e0
	s_mov_b32 s18, 0xb9e0
	;; [unrolled: 2-line block ×3, first 2 shown]
	v_lshrrev_b32_e32 v36, 16, v66
	s_movk_i32 s21, 0x370e
	s_load_dwordx4 s[8:11], s[8:9], 0x0
	s_waitcnt vmcnt(0) lgkmcnt(0)
	s_barrier
	v_mul_f16_sdwa v37, v28, v4 dst_sel:DWORD dst_unused:UNUSED_PAD src0_sel:DWORD src1_sel:WORD_1
	v_mul_f16_sdwa v38, v9, v4 dst_sel:DWORD dst_unused:UNUSED_PAD src0_sel:DWORD src1_sel:WORD_1
	;; [unrolled: 1-line block ×13, first 2 shown]
	v_fma_f16 v9, v9, v4, -v37
	v_fma_f16 v28, v28, v4, v38
	v_fma_f16 v10, v10, v5, -v40
	v_fma_f16 v31, v31, v5, v41
	;; [unrolled: 2-line block ×4, first 2 shown]
	v_mul_f16_sdwa v76, v53, v20 dst_sel:DWORD dst_unused:UNUSED_PAD src0_sel:DWORD src1_sel:WORD_1
	v_fma_f16 v11, v11, v6, -v42
	v_fma_f16 v32, v32, v6, v52
	v_fma_f16 v12, v12, v7, -v54
	v_fma_f16 v33, v33, v7, v56
	v_fma_f16 v42, v53, v20, -v75
	v_add_f16_e32 v53, v9, v14
	v_add_f16_e32 v54, v28, v35
	v_sub_f16_e32 v9, v9, v14
	v_sub_f16_e32 v14, v28, v35
	v_add_f16_e32 v28, v10, v13
	v_add_f16_e32 v35, v31, v34
	v_mul_f16_sdwa v70, v26, v2 dst_sel:DWORD dst_unused:UNUSED_PAD src0_sel:DWORD src1_sel:WORD_1
	v_mul_f16_sdwa v72, v23, v3 dst_sel:DWORD dst_unused:UNUSED_PAD src0_sel:DWORD src1_sel:WORD_1
	v_mul_f16_sdwa v74, v24, v19 dst_sel:DWORD dst_unused:UNUSED_PAD src0_sel:DWORD src1_sel:WORD_1
	v_sub_f16_e32 v10, v10, v13
	v_sub_f16_e32 v13, v31, v34
	v_add_f16_e32 v31, v11, v12
	v_add_f16_e32 v34, v32, v33
	v_sub_f16_e32 v11, v12, v11
	v_sub_f16_e32 v12, v33, v32
	v_add_f16_e32 v32, v28, v53
	v_add_f16_e32 v33, v35, v54
	v_mul_f16_sdwa v69, v60, v2 dst_sel:DWORD dst_unused:UNUSED_PAD src0_sel:DWORD src1_sel:WORD_1
	v_mul_f16_sdwa v71, v59, v3 dst_sel:DWORD dst_unused:UNUSED_PAD src0_sel:DWORD src1_sel:WORD_1
	;; [unrolled: 1-line block ×3, first 2 shown]
	v_fma_f16 v38, v60, v2, v70
	v_fma_f16 v40, v59, v3, v72
	;; [unrolled: 1-line block ×4, first 2 shown]
	v_sub_f16_e32 v55, v28, v53
	v_sub_f16_e32 v56, v35, v54
	;; [unrolled: 1-line block ×6, first 2 shown]
	v_add_f16_e32 v57, v11, v10
	v_add_f16_e32 v58, v12, v13
	v_sub_f16_e32 v59, v11, v10
	v_sub_f16_e32 v60, v12, v13
	v_sub_f16_e32 v10, v10, v9
	v_add_f16_e32 v31, v31, v32
	v_add_f16_e32 v32, v34, v33
	v_sub_f16_e32 v11, v9, v11
	v_sub_f16_e32 v12, v14, v12
	;; [unrolled: 1-line block ×3, first 2 shown]
	v_add_f16_e32 v9, v57, v9
	v_add_f16_e32 v14, v58, v14
	;; [unrolled: 1-line block ×3, first 2 shown]
	v_add_f16_sdwa v34, v8, v32 dst_sel:DWORD dst_unused:UNUSED_PAD src0_sel:WORD_1 src1_sel:DWORD
	v_mul_f16_e32 v8, 0x3a52, v53
	v_mul_f16_e32 v53, 0x3a52, v54
	;; [unrolled: 1-line block ×7, first 2 shown]
	v_mul_f16_sdwa v65, v66, v0 dst_sel:DWORD dst_unused:UNUSED_PAD src0_sel:DWORD src1_sel:WORD_1
	v_mul_f16_sdwa v68, v25, v1 dst_sel:DWORD dst_unused:UNUSED_PAD src0_sel:DWORD src1_sel:WORD_1
	v_mul_f16_e32 v61, 0x3b00, v13
	v_fma_f16 v31, v31, s16, v33
	v_fma_f16 v32, v32, s16, v34
	;; [unrolled: 1-line block ×4, first 2 shown]
	v_fma_f16 v54, v55, s17, -v54
	v_fma_f16 v57, v56, s17, -v57
	;; [unrolled: 1-line block ×4, first 2 shown]
	v_fma_f16 v55, v11, s19, v58
	v_fma_f16 v10, v10, s15, -v58
	v_fma_f16 v13, v13, s15, -v59
	;; [unrolled: 1-line block ×3, first 2 shown]
	v_mul_f16_sdwa v64, v15, v0 dst_sel:DWORD dst_unused:UNUSED_PAD src0_sel:DWORD src1_sel:WORD_1
	v_mul_f16_sdwa v67, v36, v1 dst_sel:DWORD dst_unused:UNUSED_PAD src0_sel:DWORD src1_sel:WORD_1
	v_fma_f16 v15, v15, v0, v65
	v_fma_f16 v36, v36, v1, v68
	v_fma_f16 v56, v12, s19, v59
	v_fma_f16 v12, v12, s20, -v61
	v_add_f16_e32 v28, v28, v31
	v_add_f16_e32 v35, v35, v32
	;; [unrolled: 1-line block ×6, first 2 shown]
	v_fma_f16 v32, v9, s21, v55
	v_fma_f16 v10, v9, s21, v10
	;; [unrolled: 1-line block ×4, first 2 shown]
	v_fma_f16 v37, v66, v0, -v64
	v_fma_f16 v25, v25, v1, -v67
	;; [unrolled: 1-line block ×5, first 2 shown]
	v_fma_f16 v53, v14, s21, v56
	v_fma_f16 v11, v14, s21, v12
	v_sub_f16_e32 v60, v31, v9
	v_sub_f16_e32 v61, v54, v13
	v_add_f16_e32 v63, v13, v54
	v_add_f16_e32 v31, v9, v31
	;; [unrolled: 1-line block ×6, first 2 shown]
	v_sub_f16_e32 v65, v8, v11
	v_sub_f16_e32 v66, v28, v53
	v_add_f16_e32 v8, v37, v42
	v_sub_f16_e32 v11, v15, v52
	v_add_f16_e32 v12, v25, v24
	v_sub_f16_e32 v15, v25, v24
	v_sub_f16_e32 v24, v36, v41
	v_add_f16_e32 v25, v26, v23
	v_add_f16_e32 v28, v38, v40
	v_sub_f16_e32 v23, v23, v26
	v_sub_f16_e32 v26, v40, v38
	v_add_f16_e32 v36, v13, v9
	v_sub_f16_e32 v58, v35, v32
	v_add_f16_e32 v62, v10, v57
	;; [unrolled: 2-line block ×4, first 2 shown]
	v_sub_f16_e32 v37, v12, v8
	v_sub_f16_e32 v38, v13, v9
	v_sub_f16_e32 v40, v8, v25
	v_sub_f16_e32 v41, v9, v28
	v_sub_f16_e32 v13, v28, v13
	v_add_f16_e32 v8, v23, v15
	v_add_f16_e32 v9, v26, v24
	v_sub_f16_e32 v42, v23, v15
	v_add_f16_e32 v28, v28, v36
	v_sub_f16_e32 v12, v25, v12
	v_sub_f16_e32 v52, v26, v24
	;; [unrolled: 1-line block ×4, first 2 shown]
	v_add_f16_e32 v25, v25, v35
	v_add_f16_e32 v35, v8, v10
	;; [unrolled: 1-line block ×4, first 2 shown]
	v_mul_f16_e32 v10, 0x3a52, v40
	v_mul_f16_e32 v39, 0x2b26, v13
	;; [unrolled: 1-line block ×3, first 2 shown]
	v_sub_f16_e32 v26, v11, v26
	v_sub_f16_e32 v24, v24, v11
	v_mul_f16_e32 v11, 0x3a52, v41
	v_mul_f16_e32 v41, 0xb846, v52
	;; [unrolled: 1-line block ×3, first 2 shown]
	v_fma_f16 v28, v28, s16, v9
	v_fma_f16 v39, v38, s17, -v39
	v_fma_f16 v15, v15, s15, -v40
	v_fma_f16 v13, v13, s14, v11
	v_fma_f16 v54, v26, s19, v41
	v_add_f16_e32 v39, v39, v28
	v_fma_f16 v15, v35, s21, v15
	v_mul_f16_e32 v52, 0x3b00, v24
	v_fma_f16 v38, v38, s18, -v11
	v_add_f16_e32 v11, v13, v28
	v_fma_f16 v13, v36, s21, v54
	v_add_f16_e32 v54, v15, v39
	v_sub_f16_e32 v55, v39, v15
	v_mul_u32_u24_e32 v15, 0x77, v29
	v_add_f16_e32 v8, v27, v25
	v_mul_f16_e32 v27, 0x2b26, v12
	v_fma_f16 v26, v26, s20, -v52
	v_add_lshl_u32 v52, v15, v30, 2
	v_pack_b32_f16 v15, v33, v34
	v_pack_b32_f16 v14, v14, v58
	v_fma_f16 v25, v25, s16, v8
	v_fma_f16 v12, v12, s14, v10
	v_fma_f16 v27, v37, s17, -v27
	v_fma_f16 v37, v37, s18, -v10
	v_fma_f16 v53, v23, s19, v40
	v_fma_f16 v24, v24, s15, -v41
	v_fma_f16 v23, v23, s20, -v42
	ds_write2_b32 v52, v15, v14 offset1:17
	v_pack_b32_f16 v14, v59, v60
	v_pack_b32_f16 v15, v61, v62
	v_add_f16_e32 v10, v12, v25
	v_add_f16_e32 v27, v27, v25
	;; [unrolled: 1-line block ×4, first 2 shown]
	v_fma_f16 v12, v35, s21, v53
	v_fma_f16 v38, v36, s21, v24
	;; [unrolled: 1-line block ×4, first 2 shown]
	ds_write2_b32 v52, v14, v15 offset0:34 offset1:51
	v_pack_b32_f16 v14, v63, v64
	v_pack_b32_f16 v15, v65, v31
	v_add_f16_e32 v24, v35, v37
	v_sub_f16_e32 v53, v28, v23
	v_sub_f16_e32 v25, v27, v38
	v_add_f16_e32 v26, v38, v27
	v_sub_f16_e32 v27, v37, v35
	v_add_f16_e32 v56, v23, v28
	;; [unrolled: 2-line block ×3, first 2 shown]
	ds_write2_b32 v52, v14, v15 offset0:68 offset1:85
	v_pack_b32_f16 v14, v66, v32
	ds_write_b32 v52, v14 offset:408
	s_and_saveexec_b64 s[14:15], s[2:3]
	s_cbranch_execz .LBB0_11
; %bb.10:
	v_sub_f16_e32 v11, v11, v12
	v_add_f16_e32 v10, v13, v10
	v_mul_u32_u24_e32 v12, 0x77, v46
	s_mov_b32 s16, 0x5040100
	v_add_lshl_u32 v12, v12, v47, 2
	v_perm_b32 v8, v9, v8, s16
	v_pack_b32_f16 v9, v10, v11
	ds_write2_b32 v12, v8, v9 offset1:17
	v_perm_b32 v8, v53, v24, s16
	v_perm_b32 v9, v54, v25, s16
	ds_write2_b32 v12, v8, v9 offset0:34 offset1:51
	v_perm_b32 v8, v55, v26, s16
	v_perm_b32 v9, v56, v27, s16
	ds_write2_b32 v12, v8, v9 offset0:68 offset1:85
	v_perm_b32 v8, v57, v28, s16
	ds_write_b32 v12, v8 offset:408
.LBB0_11:
	s_or_b64 exec, exec, s[14:15]
	v_lshlrev_b32_e32 v23, 5, v44
	s_waitcnt lgkmcnt(0)
	s_barrier
	global_load_dwordx4 v[8:11], v23, s[4:5] offset:408
	global_load_dwordx4 v[12:15], v23, s[4:5] offset:424
	v_add_u32_e32 v39, 0x400, v43
	ds_read_b32 v40, v43
	ds_read2_b32 v[29:30], v43 offset0:119 offset1:238
	v_add_u32_e32 v38, 0x800, v43
	v_add_u32_e32 v37, 0xc00, v43
	ds_read2_b32 v[31:32], v39 offset0:101 offset1:220
	ds_read2_b32 v[33:34], v38 offset0:83 offset1:202
	;; [unrolled: 1-line block ×3, first 2 shown]
	s_movk_i32 s15, 0x3a21
	s_waitcnt lgkmcnt(3)
	v_lshrrev_b32_e32 v23, 16, v29
	v_lshrrev_b32_e32 v42, 16, v30
	s_waitcnt lgkmcnt(2)
	v_lshrrev_b32_e32 v58, 16, v31
	s_waitcnt lgkmcnt(0)
	v_lshrrev_b32_e32 v63, 16, v36
	v_lshrrev_b32_e32 v59, 16, v32
	;; [unrolled: 1-line block ×6, first 2 shown]
	s_movk_i32 s4, 0x3be1
	s_movk_i32 s16, 0x318f
	;; [unrolled: 1-line block ×4, first 2 shown]
	s_mov_b32 s17, 0xbb84
	s_mov_b32 s18, 0xb924
	s_waitcnt vmcnt(1)
	v_mul_f16_sdwa v64, v23, v8 dst_sel:DWORD dst_unused:UNUSED_PAD src0_sel:DWORD src1_sel:WORD_1
	v_mul_f16_sdwa v65, v29, v8 dst_sel:DWORD dst_unused:UNUSED_PAD src0_sel:DWORD src1_sel:WORD_1
	;; [unrolled: 1-line block ×4, first 2 shown]
	s_waitcnt vmcnt(0)
	v_mul_f16_sdwa v78, v63, v15 dst_sel:DWORD dst_unused:UNUSED_PAD src0_sel:DWORD src1_sel:WORD_1
	v_mul_f16_sdwa v79, v36, v15 dst_sel:DWORD dst_unused:UNUSED_PAD src0_sel:DWORD src1_sel:WORD_1
	;; [unrolled: 1-line block ×9, first 2 shown]
	v_fma_f16 v29, v29, v8, -v64
	v_fma_f16 v23, v23, v8, v65
	v_fma_f16 v30, v30, v9, -v66
	v_fma_f16 v66, v59, v11, v71
	v_fma_f16 v36, v36, v15, -v78
	v_fma_f16 v59, v63, v15, v79
	v_mul_f16_sdwa v72, v60, v12 dst_sel:DWORD dst_unused:UNUSED_PAD src0_sel:DWORD src1_sel:WORD_1
	v_mul_f16_sdwa v73, v33, v12 dst_sel:DWORD dst_unused:UNUSED_PAD src0_sel:DWORD src1_sel:WORD_1
	;; [unrolled: 1-line block ×3, first 2 shown]
	v_fma_f16 v42, v42, v9, v67
	v_fma_f16 v31, v31, v10, -v68
	v_fma_f16 v58, v58, v10, v69
	v_fma_f16 v65, v32, v11, -v70
	v_fma_f16 v32, v34, v13, -v74
	v_fma_f16 v34, v35, v14, -v76
	v_fma_f16 v35, v62, v14, v77
	v_add_f16_e32 v69, v29, v36
	v_add_f16_e32 v70, v23, v59
	v_sub_f16_e32 v29, v29, v36
	v_sub_f16_e32 v36, v23, v59
	v_fma_f16 v67, v33, v12, -v72
	v_fma_f16 v68, v60, v12, v73
	v_fma_f16 v33, v61, v13, v75
	v_add_f16_e32 v71, v30, v34
	v_add_f16_e32 v72, v42, v35
	;; [unrolled: 1-line block ×3, first 2 shown]
	v_sub_f16_e32 v75, v30, v34
	v_sub_f16_e32 v35, v42, v35
	;; [unrolled: 1-line block ×3, first 2 shown]
	v_mul_f16_e32 v23, 0x3924, v29
	v_mul_f16_e32 v30, 0x3924, v36
	v_fma_f16 v31, v69, s15, v40
	v_fma_f16 v32, v70, s15, v41
	v_add_f16_e32 v74, v58, v33
	v_sub_f16_e32 v58, v58, v33
	v_fma_f16 v23, v75, s4, v23
	v_fma_f16 v30, v35, s4, v30
	;; [unrolled: 1-line block ×4, first 2 shown]
	v_sub_f16_e32 v76, v65, v67
	v_sub_f16_e32 v77, v66, v68
	v_fma_f16 v23, v42, s5, v23
	v_fma_f16 v30, v58, s5, v30
	v_fma_f16 v31, v73, -0.5, v31
	v_fma_f16 v32, v74, -0.5, v32
	v_add_f16_e32 v78, v65, v67
	v_add_f16_e32 v79, v66, v68
	v_fma_f16 v33, v76, s14, v23
	v_fma_f16 v23, v77, s14, v30
	;; [unrolled: 1-line block ×4, first 2 shown]
	v_sub_f16_e32 v59, v31, v33
	v_mul_f16_e32 v31, 0xb924, v76
	v_mul_f16_e32 v32, 0xb924, v77
	v_fma_f16 v31, v29, s4, v31
	v_fma_f16 v32, v36, s4, v32
	s_mov_b32 s4, 0xbaee
	v_fma_f16 v31, v42, s4, v31
	v_fma_f16 v61, v33, 2.0, v59
	v_fma_f16 v33, v75, s14, v31
	v_fma_f16 v31, v78, s15, v40
	;; [unrolled: 1-line block ×6, first 2 shown]
	v_fma_f16 v31, v73, -0.5, v31
	v_fma_f16 v34, v74, -0.5, v34
	v_fma_f16 v32, v35, s14, v32
	v_fma_f16 v31, v71, s17, v31
	;; [unrolled: 1-line block ×3, first 2 shown]
	v_add_f16_e32 v31, v32, v31
	v_sub_f16_e32 v60, v34, v33
	v_fma_f16 v34, v32, -2.0, v31
	v_fma_f16 v63, v33, 2.0, v60
	v_add_f16_e32 v32, v76, v29
	v_add_f16_e32 v33, v77, v36
	v_mul_f16_e32 v76, 0x3be1, v76
	v_mul_f16_e32 v77, 0x3be1, v77
	v_sub_f16_e32 v62, v32, v75
	v_sub_f16_e32 v32, v33, v35
	v_fma_f16 v75, v75, s18, -v76
	v_fma_f16 v35, v35, s18, -v77
	v_add_f16_e32 v82, v71, v69
	v_add_f16_e32 v83, v72, v70
	v_fma_f16 v42, v42, s5, v75
	v_fma_f16 v35, v58, s5, v35
	;; [unrolled: 1-line block ×4, first 2 shown]
	v_add_f16_e32 v29, v73, v82
	v_add_f16_e32 v35, v74, v83
	;; [unrolled: 1-line block ×9, first 2 shown]
	v_fma_f16 v35, v71, s15, v40
	v_fma_f16 v40, v72, s15, v41
	;; [unrolled: 1-line block ×4, first 2 shown]
	v_fma_f16 v40, v74, -0.5, v40
	v_add_f16_e32 v81, v74, v41
	v_add_f16_e32 v84, v78, v82
	;; [unrolled: 1-line block ×3, first 2 shown]
	v_fma_f16 v35, v73, -0.5, v35
	v_fma_f16 v40, v70, s17, v40
	v_add_f16_e32 v30, v23, v30
	v_fma_f16 v80, v84, -0.5, v80
	v_fma_f16 v81, v85, -0.5, v81
	v_fma_f16 v35, v69, s17, v35
	v_sub_f16_e32 v65, v40, v42
	v_pack_b32_f16 v40, v29, v58
	v_mul_f16_e32 v64, 0x3aee, v62
	v_mul_f16_e32 v33, 0x3aee, v32
	v_fma_f16 v32, v32, s5, v80
	v_fma_f16 v62, v62, s4, v81
	v_add_f16_e32 v35, v36, v35
	ds_write_b32 v43, v40
	v_pack_b32_f16 v40, v30, v59
	v_fma_f16 v36, v36, -2.0, v35
	v_fma_f16 v66, v42, 2.0, v65
	ds_write_b32 v43, v40 offset:476
	v_pack_b32_f16 v40, v31, v60
	v_pack_b32_f16 v41, v32, v62
	v_add_u32_e32 v42, 0x200, v43
	v_fma_f16 v33, v33, -2.0, v32
	v_fma_f16 v64, v64, 2.0, v62
	ds_write2_b32 v42, v40, v41 offset0:110 offset1:229
	v_pack_b32_f16 v40, v35, v65
	v_pack_b32_f16 v41, v36, v66
	v_add_u32_e32 v42, 0x600, v43
	v_fma_f16 v23, v23, -2.0, v30
	ds_write2_b32 v42, v40, v41 offset0:92 offset1:211
	v_pack_b32_f16 v40, v33, v64
	v_pack_b32_f16 v41, v34, v63
	v_add_u32_e32 v42, 0xa00, v43
	ds_write2_b32 v42, v40, v41 offset0:74 offset1:193
	v_pack_b32_f16 v40, v23, v61
	ds_write_b32 v43, v40 offset:3808
	s_waitcnt lgkmcnt(0)
	s_barrier
	s_and_saveexec_b64 s[4:5], s[0:1]
	s_cbranch_execz .LBB0_13
; %bb.12:
	v_mov_b32_e32 v40, s7
	v_add_co_u32_e32 v42, vcc, s6, v43
	v_addc_co_u32_e32 v68, vcc, 0, v40, vcc
	v_add_co_u32_e32 v40, vcc, 0x10bc, v42
	v_addc_co_u32_e32 v41, vcc, 0, v68, vcc
	;; [unrolled: 2-line block ×3, first 2 shown]
	global_load_dword v42, v[67:68], off offset:188
	global_load_dword v75, v[40:41], off offset:252
	;; [unrolled: 1-line block ×11, first 2 shown]
	ds_read_b32 v67, v43
	global_load_dword v85, v[40:41], off offset:2772
	global_load_dword v86, v[40:41], off offset:3024
	;; [unrolled: 1-line block ×6, first 2 shown]
	s_waitcnt lgkmcnt(0)
	v_lshrrev_b32_e32 v40, 16, v67
	s_waitcnt vmcnt(16)
	v_mul_f16_sdwa v41, v40, v42 dst_sel:DWORD dst_unused:UNUSED_PAD src0_sel:DWORD src1_sel:WORD_1
	v_mul_f16_sdwa v68, v67, v42 dst_sel:DWORD dst_unused:UNUSED_PAD src0_sel:DWORD src1_sel:WORD_1
	v_fma_f16 v41, v67, v42, -v41
	v_fma_f16 v40, v40, v42, v68
	v_pack_b32_f16 v40, v41, v40
	ds_write_b32 v43, v40
	ds_read2_b32 v[40:41], v43 offset0:63 offset1:126
	ds_read2_b32 v[67:68], v43 offset0:189 offset1:252
	;; [unrolled: 1-line block ×5, first 2 shown]
	s_waitcnt lgkmcnt(4)
	v_lshrrev_b32_e32 v42, 16, v40
	s_waitcnt vmcnt(15)
	v_mul_f16_sdwa v91, v40, v75 dst_sel:DWORD dst_unused:UNUSED_PAD src0_sel:DWORD src1_sel:WORD_1
	v_lshrrev_b32_e32 v92, 16, v41
	s_waitcnt vmcnt(14)
	v_mul_f16_sdwa v93, v41, v76 dst_sel:DWORD dst_unused:UNUSED_PAD src0_sel:DWORD src1_sel:WORD_1
	s_waitcnt lgkmcnt(3)
	v_lshrrev_b32_e32 v94, 16, v67
	s_waitcnt vmcnt(13)
	v_mul_f16_sdwa v95, v67, v77 dst_sel:DWORD dst_unused:UNUSED_PAD src0_sel:DWORD src1_sel:WORD_1
	v_lshrrev_b32_e32 v96, 16, v68
	s_waitcnt vmcnt(12)
	v_mul_f16_sdwa v97, v68, v78 dst_sel:DWORD dst_unused:UNUSED_PAD src0_sel:DWORD src1_sel:WORD_1
	;; [unrolled: 7-line block ×3, first 2 shown]
	s_waitcnt lgkmcnt(1)
	v_lshrrev_b32_e32 v102, 16, v71
	s_waitcnt vmcnt(9)
	v_mul_f16_sdwa v103, v71, v81 dst_sel:DWORD dst_unused:UNUSED_PAD src0_sel:DWORD src1_sel:WORD_1
	v_lshrrev_b32_e32 v104, 16, v72
	v_mul_f16_sdwa v107, v42, v75 dst_sel:DWORD dst_unused:UNUSED_PAD src0_sel:DWORD src1_sel:WORD_1
	v_fma_f16 v42, v42, v75, v91
	v_mul_f16_sdwa v91, v92, v76 dst_sel:DWORD dst_unused:UNUSED_PAD src0_sel:DWORD src1_sel:WORD_1
	s_waitcnt vmcnt(8)
	v_mul_f16_sdwa v105, v72, v82 dst_sel:DWORD dst_unused:UNUSED_PAD src0_sel:DWORD src1_sel:WORD_1
	v_fma_f16 v92, v92, v76, v93
	v_mul_f16_sdwa v93, v94, v77 dst_sel:DWORD dst_unused:UNUSED_PAD src0_sel:DWORD src1_sel:WORD_1
	v_fma_f16 v94, v94, v77, v95
	;; [unrolled: 2-line block ×6, first 2 shown]
	v_mul_f16_sdwa v103, v104, v82 dst_sel:DWORD dst_unused:UNUSED_PAD src0_sel:DWORD src1_sel:WORD_1
	v_fma_f16 v40, v40, v75, -v107
	v_fma_f16 v41, v41, v76, -v91
	s_waitcnt lgkmcnt(0)
	v_lshrrev_b32_e32 v106, 16, v73
	v_fma_f16 v104, v104, v82, v105
	v_fma_f16 v67, v67, v77, -v93
	v_fma_f16 v68, v68, v78, -v95
	;; [unrolled: 1-line block ×6, first 2 shown]
	v_pack_b32_f16 v40, v40, v42
	v_pack_b32_f16 v41, v41, v92
	;; [unrolled: 1-line block ×8, first 2 shown]
	ds_write2_b32 v43, v40, v41 offset0:63 offset1:126
	ds_write2_b32 v43, v42, v67 offset0:189 offset1:252
	;; [unrolled: 1-line block ×4, first 2 shown]
	s_waitcnt vmcnt(7)
	v_mul_f16_sdwa v39, v106, v83 dst_sel:DWORD dst_unused:UNUSED_PAD src0_sel:DWORD src1_sel:WORD_1
	v_mul_f16_sdwa v40, v73, v83 dst_sel:DWORD dst_unused:UNUSED_PAD src0_sel:DWORD src1_sel:WORD_1
	v_fma_f16 v39, v73, v83, -v39
	v_fma_f16 v40, v106, v83, v40
	v_lshrrev_b32_e32 v42, 16, v74
	v_pack_b32_f16 v41, v39, v40
	s_waitcnt vmcnt(6)
	v_mul_f16_sdwa v39, v42, v84 dst_sel:DWORD dst_unused:UNUSED_PAD src0_sel:DWORD src1_sel:WORD_1
	v_fma_f16 v67, v74, v84, -v39
	ds_read2_b32 v[39:40], v38 offset0:181 offset1:244
	v_mul_f16_sdwa v68, v74, v84 dst_sel:DWORD dst_unused:UNUSED_PAD src0_sel:DWORD src1_sel:WORD_1
	v_fma_f16 v42, v42, v84, v68
	v_pack_b32_f16 v42, v67, v42
	ds_write2_b32 v38, v41, v42 offset0:55 offset1:118
	s_waitcnt lgkmcnt(1)
	v_lshrrev_b32_e32 v41, 16, v39
	s_waitcnt vmcnt(5)
	v_mul_f16_sdwa v42, v41, v85 dst_sel:DWORD dst_unused:UNUSED_PAD src0_sel:DWORD src1_sel:WORD_1
	v_fma_f16 v42, v39, v85, -v42
	v_mul_f16_sdwa v39, v39, v85 dst_sel:DWORD dst_unused:UNUSED_PAD src0_sel:DWORD src1_sel:WORD_1
	v_lshrrev_b32_e32 v67, 16, v40
	v_fma_f16 v39, v41, v85, v39
	s_waitcnt vmcnt(4)
	v_mul_f16_sdwa v41, v67, v86 dst_sel:DWORD dst_unused:UNUSED_PAD src0_sel:DWORD src1_sel:WORD_1
	v_pack_b32_f16 v39, v42, v39
	v_fma_f16 v68, v40, v86, -v41
	ds_read2_b32 v[41:42], v37 offset0:51 offset1:114
	v_mul_f16_sdwa v40, v40, v86 dst_sel:DWORD dst_unused:UNUSED_PAD src0_sel:DWORD src1_sel:WORD_1
	v_fma_f16 v40, v67, v86, v40
	v_pack_b32_f16 v40, v68, v40
	ds_write2_b32 v38, v39, v40 offset0:181 offset1:244
	s_waitcnt lgkmcnt(1)
	v_lshrrev_b32_e32 v38, 16, v41
	s_waitcnt vmcnt(3)
	v_mul_f16_sdwa v39, v38, v87 dst_sel:DWORD dst_unused:UNUSED_PAD src0_sel:DWORD src1_sel:WORD_1
	v_mul_f16_sdwa v40, v41, v87 dst_sel:DWORD dst_unused:UNUSED_PAD src0_sel:DWORD src1_sel:WORD_1
	v_fma_f16 v39, v41, v87, -v39
	v_fma_f16 v38, v38, v87, v40
	v_lshrrev_b32_e32 v41, 16, v42
	v_pack_b32_f16 v40, v39, v38
	s_waitcnt vmcnt(2)
	v_mul_f16_sdwa v38, v41, v88 dst_sel:DWORD dst_unused:UNUSED_PAD src0_sel:DWORD src1_sel:WORD_1
	v_fma_f16 v67, v42, v88, -v38
	ds_read2_b32 v[38:39], v37 offset0:177 offset1:240
	v_mul_f16_sdwa v42, v42, v88 dst_sel:DWORD dst_unused:UNUSED_PAD src0_sel:DWORD src1_sel:WORD_1
	v_fma_f16 v41, v41, v88, v42
	v_pack_b32_f16 v41, v67, v41
	ds_write2_b32 v37, v40, v41 offset0:51 offset1:114
	s_waitcnt lgkmcnt(1)
	v_lshrrev_b32_e32 v40, 16, v38
	s_waitcnt vmcnt(1)
	v_mul_f16_sdwa v41, v40, v89 dst_sel:DWORD dst_unused:UNUSED_PAD src0_sel:DWORD src1_sel:WORD_1
	v_fma_f16 v41, v38, v89, -v41
	v_mul_f16_sdwa v38, v38, v89 dst_sel:DWORD dst_unused:UNUSED_PAD src0_sel:DWORD src1_sel:WORD_1
	v_fma_f16 v38, v40, v89, v38
	v_lshrrev_b32_e32 v40, 16, v39
	v_pack_b32_f16 v38, v41, v38
	s_waitcnt vmcnt(0)
	v_mul_f16_sdwa v41, v40, v90 dst_sel:DWORD dst_unused:UNUSED_PAD src0_sel:DWORD src1_sel:WORD_1
	v_fma_f16 v41, v39, v90, -v41
	v_mul_f16_sdwa v39, v39, v90 dst_sel:DWORD dst_unused:UNUSED_PAD src0_sel:DWORD src1_sel:WORD_1
	v_fma_f16 v39, v40, v90, v39
	v_pack_b32_f16 v39, v41, v39
	ds_write2_b32 v37, v38, v39 offset0:177 offset1:240
.LBB0_13:
	s_or_b64 exec, exec, s[4:5]
	s_waitcnt lgkmcnt(0)
	s_barrier
	s_and_saveexec_b64 s[4:5], s[0:1]
	s_cbranch_execz .LBB0_15
; %bb.14:
	v_add_u32_e32 v17, 0x200, v43
	ds_read2_b32 v[29:30], v43 offset1:63
	ds_read2_b32 v[31:32], v43 offset0:126 offset1:189
	ds_read2_b32 v[35:36], v17 offset0:124 offset1:187
	v_add_u32_e32 v17, 0x400, v43
	ds_read2_b32 v[33:34], v17 offset0:122 offset1:185
	v_add_u32_e32 v17, 0x600, v43
	;; [unrolled: 2-line block ×5, first 2 shown]
	ds_read2_b32 v[17:18], v17 offset0:114 offset1:177
	ds_read_b32 v51, v43 offset:4032
	s_waitcnt lgkmcnt(8)
	v_lshrrev_b32_e32 v58, 16, v29
	v_lshrrev_b32_e32 v59, 16, v30
	s_waitcnt lgkmcnt(7)
	v_lshrrev_b32_e32 v60, 16, v31
	v_lshrrev_b32_e32 v62, 16, v32
	;; [unrolled: 3-line block ×8, first 2 shown]
	s_waitcnt lgkmcnt(0)
	v_lshrrev_b32_e32 v48, 16, v51
.LBB0_15:
	s_or_b64 exec, exec, s[4:5]
	v_add_f16_e32 v84, v48, v59
	v_sub_f16_e32 v69, v30, v51
	v_mul_f16_e32 v71, 0xbacd, v84
	s_movk_i32 s24, 0x3836
	v_sub_f16_e32 v81, v59, v48
	v_fma_f16 v72, v69, s24, v71
	v_add_f16_e32 v67, v51, v30
	v_add_f16_e32 v73, v58, v72
	v_mul_f16_e32 v72, 0xb1e1, v81
	s_mov_b32 s21, 0xbbdd
	s_mov_b32 s23, 0xb1e1
	v_fma_f16 v74, v67, s21, v72
	v_mul_f16_e32 v75, 0xbbdd, v84
	v_fma_f16 v72, v67, s21, -v72
	s_movk_i32 s14, 0x2de8
	v_mul_f16_e32 v94, 0xbbf7, v81
	s_movk_i32 s33, 0x31e1
	v_add_f16_e32 v78, v29, v72
	v_fma_f16 v72, v69, s23, v75
	v_sub_f16_e32 v86, v60, v49
	s_mov_b32 s17, 0xbbf7
	v_mul_f16_e32 v97, 0x2de8, v84
	v_fma_f16 v37, v67, s14, -v94
	v_fma_f16 v76, v69, s33, v75
	v_add_f16_e32 v75, v58, v72
	v_add_f16_e32 v72, v18, v31
	;; [unrolled: 1-line block ×3, first 2 shown]
	v_mul_f16_e32 v103, 0xb1e1, v86
	v_add_f16_e32 v37, v29, v37
	v_fma_f16 v38, v69, s17, v97
	s_mov_b32 s15, 0xb461
	v_mul_f16_e32 v100, 0xbbb2, v81
	v_sub_f16_e32 v77, v31, v18
	v_mul_f16_e32 v106, 0xbbdd, v88
	v_fma_f16 v79, v72, s21, -v103
	v_add_f16_e32 v38, v58, v38
	s_mov_b32 s19, 0xbbb2
	v_mul_f16_e32 v104, 0xb461, v84
	v_fma_f16 v39, v67, s15, -v100
	s_mov_b32 s18, 0xbacd
	v_add_f16_e32 v37, v79, v37
	v_fma_f16 v79, v77, s23, v106
	v_mul_f16_e32 v109, 0x3836, v86
	v_add_f16_e32 v39, v29, v39
	v_fma_f16 v40, v69, s19, v104
	s_mov_b32 s16, 0xb8d2
	v_mul_f16_e32 v107, 0xba62, v81
	v_add_f16_e32 v38, v79, v38
	v_mul_f16_e32 v113, 0xbacd, v88
	v_fma_f16 v79, v72, s18, -v109
	v_add_f16_e32 v40, v58, v40
	s_mov_b32 s20, 0xba62
	v_mul_f16_e32 v110, 0xb8d2, v84
	v_fma_f16 v41, v67, s16, -v107
	v_add_f16_e32 v39, v79, v39
	v_fma_f16 v79, v77, s24, v113
	v_mul_f16_e32 v116, 0x3bb2, v86
	v_add_f16_e32 v41, v29, v41
	v_fma_f16 v42, v69, s20, v110
	v_add_f16_e32 v40, v79, v40
	s_movk_i32 s28, 0x3bb2
	v_mul_f16_e32 v120, 0xb461, v88
	v_fma_f16 v79, v72, s15, -v116
	v_add_f16_e32 v42, v58, v42
	v_mul_f16_e32 v68, 0xb836, v81
	v_add_f16_e32 v41, v79, v41
	v_fma_f16 v79, v77, s28, v120
	v_fma_f16 v70, v67, s18, v68
	v_add_f16_e32 v42, v79, v42
	v_mul_f16_e32 v79, 0x3b29, v86
	s_movk_i32 s25, 0x3722
	v_add_f16_e32 v70, v29, v70
	v_fma_f16 v68, v67, s18, -v68
	v_fma_f16 v80, v72, s25, v79
	v_add_f16_e32 v68, v29, v68
	v_fma_f16 v71, v69, s22, v71
	s_movk_i32 s31, 0x3b29
	v_add_f16_e32 v70, v80, v70
	v_mul_f16_e32 v80, 0x3722, v88
	v_fma_f16 v79, v72, s25, -v79
	v_add_f16_e32 v71, v58, v71
	v_add_f16_e32 v68, v79, v68
	v_fma_f16 v79, v77, s31, v80
	s_mov_b32 s27, 0xbb29
	v_add_f16_e32 v71, v79, v71
	v_mul_f16_e32 v79, 0x35c8, v86
	s_movk_i32 s26, 0x3b76
	v_add_f16_e32 v74, v29, v74
	v_fma_f16 v82, v77, s27, v80
	v_fma_f16 v80, v72, s26, v79
	s_movk_i32 s34, 0x35c8
	v_add_f16_e32 v74, v80, v74
	v_mul_f16_e32 v80, 0x3b76, v88
	v_fma_f16 v79, v72, s26, -v79
	s_mov_b32 s30, 0xb5c8
	v_add_f16_e32 v78, v79, v78
	v_fma_f16 v79, v77, s34, v80
	v_sub_f16_e32 v90, v62, v50
	v_add_f16_e32 v76, v58, v76
	v_add_f16_e32 v73, v82, v73
	v_fma_f16 v82, v77, s30, v80
	v_add_f16_e32 v75, v79, v75
	v_add_f16_e32 v79, v17, v32
	;; [unrolled: 1-line block ×3, first 2 shown]
	v_mul_f16_e32 v111, 0x3bb2, v90
	v_add_f16_e32 v76, v82, v76
	v_sub_f16_e32 v80, v32, v17
	v_mul_f16_e32 v114, 0xb461, v92
	v_fma_f16 v82, v79, s15, -v111
	v_add_f16_e32 v37, v82, v37
	v_fma_f16 v82, v80, s28, v114
	s_movk_i32 s29, 0x39e9
	v_mul_f16_e32 v117, 0x3964, v90
	v_add_f16_e32 v38, v82, v38
	s_movk_i32 s35, 0x3964
	v_mul_f16_e32 v121, 0x39e9, v92
	v_fma_f16 v82, v79, s29, -v117
	v_add_f16_e32 v39, v82, v39
	v_fma_f16 v82, v80, s35, v121
	v_mul_f16_e32 v124, 0xb5c8, v90
	v_add_f16_e32 v40, v82, v40
	v_mul_f16_e32 v128, 0x3b76, v92
	v_fma_f16 v82, v79, s26, -v124
	v_add_f16_e32 v41, v82, v41
	v_fma_f16 v82, v80, s30, v128
	v_add_f16_e32 v42, v82, v42
	v_mul_f16_e32 v82, 0xbbf7, v90
	v_fma_f16 v83, v79, s14, v82
	v_add_f16_e32 v70, v83, v70
	v_mul_f16_e32 v83, 0x2de8, v92
	v_fma_f16 v82, v79, s14, -v82
	v_add_f16_e32 v68, v82, v68
	v_fma_f16 v82, v80, s17, v83
	s_movk_i32 s37, 0x3bf7
	v_add_f16_e32 v71, v82, v71
	v_mul_f16_e32 v82, 0xb836, v90
	v_fma_f16 v85, v80, s37, v83
	v_fma_f16 v83, v79, s18, v82
	v_add_f16_e32 v74, v83, v74
	v_mul_f16_e32 v83, 0xbacd, v92
	v_fma_f16 v82, v79, s18, -v82
	v_add_f16_e32 v78, v82, v78
	v_fma_f16 v82, v80, s22, v83
	v_sub_f16_e32 v95, v65, v57
	v_add_f16_e32 v73, v85, v73
	v_fma_f16 v85, v80, s24, v83
	v_add_f16_e32 v75, v82, v75
	v_add_f16_e32 v82, v28, v35
	;; [unrolled: 1-line block ×3, first 2 shown]
	v_mul_f16_e32 v118, 0x35c8, v95
	v_add_f16_e32 v76, v85, v76
	v_sub_f16_e32 v83, v35, v28
	v_mul_f16_e32 v122, 0x3b76, v98
	v_fma_f16 v85, v82, s26, -v118
	v_add_f16_e32 v37, v85, v37
	v_fma_f16 v85, v83, s34, v122
	v_mul_f16_e32 v125, 0xbb29, v95
	v_add_f16_e32 v38, v85, v38
	v_mul_f16_e32 v129, 0x3722, v98
	v_fma_f16 v85, v82, s25, -v125
	v_add_f16_e32 v39, v85, v39
	v_fma_f16 v85, v83, s27, v129
	v_mul_f16_e32 v131, 0xb836, v95
	v_add_f16_e32 v40, v85, v40
	v_mul_f16_e32 v134, 0xbacd, v98
	v_fma_f16 v85, v82, s18, -v131
	v_add_f16_e32 v41, v85, v41
	v_fma_f16 v85, v83, s22, v134
	v_add_f16_e32 v42, v85, v42
	v_mul_f16_e32 v85, 0x3a62, v95
	v_fma_f16 v87, v82, s16, v85
	s_movk_i32 s38, 0x3a62
	v_add_f16_e32 v70, v87, v70
	v_mul_f16_e32 v87, 0xb8d2, v98
	v_fma_f16 v85, v82, s16, -v85
	v_add_f16_e32 v68, v85, v68
	v_fma_f16 v85, v83, s38, v87
	v_add_f16_e32 v71, v85, v71
	v_mul_f16_e32 v85, 0x3964, v95
	v_fma_f16 v89, v83, s20, v87
	v_fma_f16 v87, v82, s29, v85
	v_add_f16_e32 v74, v87, v74
	v_mul_f16_e32 v87, 0x39e9, v98
	v_fma_f16 v85, v82, s29, -v85
	s_mov_b32 s36, 0xb964
	v_add_f16_e32 v78, v85, v78
	v_fma_f16 v85, v83, s35, v87
	v_sub_f16_e32 v101, v66, v56
	v_add_f16_e32 v73, v89, v73
	v_fma_f16 v89, v83, s36, v87
	v_add_f16_e32 v75, v85, v75
	v_add_f16_e32 v85, v27, v36
	;; [unrolled: 1-line block ×3, first 2 shown]
	v_mul_f16_e32 v127, 0xbb29, v101
	v_add_f16_e32 v76, v89, v76
	v_sub_f16_e32 v87, v36, v27
	v_mul_f16_e32 v130, 0x3722, v105
	v_fma_f16 v89, v85, s25, -v127
	v_add_f16_e32 v37, v89, v37
	v_fma_f16 v89, v87, s27, v130
	v_mul_f16_e32 v132, 0xb1e1, v101
	v_add_f16_e32 v38, v89, v38
	v_mul_f16_e32 v135, 0xbbdd, v105
	v_fma_f16 v89, v85, s21, -v132
	v_add_f16_e32 v39, v89, v39
	v_fma_f16 v89, v87, s23, v135
	v_mul_f16_e32 v137, 0x3bf7, v101
	v_add_f16_e32 v40, v89, v40
	v_mul_f16_e32 v140, 0x2de8, v105
	v_fma_f16 v89, v85, s14, -v137
	v_add_f16_e32 v41, v89, v41
	v_fma_f16 v89, v87, s37, v140
	v_add_f16_e32 v42, v89, v42
	v_mul_f16_e32 v89, 0xb5c8, v101
	v_fma_f16 v91, v85, s26, v89
	v_add_f16_e32 v70, v91, v70
	v_mul_f16_e32 v91, 0x3b76, v105
	v_fma_f16 v89, v85, s26, -v89
	v_add_f16_e32 v68, v89, v68
	v_fma_f16 v89, v87, s30, v91
	v_add_f16_e32 v71, v89, v71
	v_mul_f16_e32 v89, 0xba62, v101
	v_fma_f16 v93, v87, s34, v91
	v_fma_f16 v91, v85, s16, v89
	v_add_f16_e32 v74, v91, v74
	v_mul_f16_e32 v91, 0xb8d2, v105
	v_fma_f16 v89, v85, s16, -v89
	v_add_f16_e32 v78, v89, v78
	v_fma_f16 v89, v87, s20, v91
	v_sub_f16_e32 v108, v64, v55
	v_add_f16_e32 v73, v93, v73
	v_fma_f16 v93, v87, s38, v91
	v_add_f16_e32 v75, v89, v75
	v_add_f16_e32 v89, v26, v33
	;; [unrolled: 1-line block ×3, first 2 shown]
	v_mul_f16_e32 v133, 0xb836, v108
	v_add_f16_e32 v76, v93, v76
	v_sub_f16_e32 v91, v33, v26
	v_mul_f16_e32 v136, 0xbacd, v112
	v_fma_f16 v93, v89, s18, -v133
	v_add_f16_e32 v37, v93, v37
	v_fma_f16 v93, v91, s22, v136
	v_mul_f16_e32 v138, 0x3bf7, v108
	v_add_f16_e32 v38, v93, v38
	v_mul_f16_e32 v141, 0x2de8, v112
	v_fma_f16 v93, v89, s14, -v138
	v_add_f16_e32 v39, v93, v39
	v_fma_f16 v93, v91, s37, v141
	v_mul_f16_e32 v143, 0xb964, v108
	v_add_f16_e32 v40, v93, v40
	v_mul_f16_e32 v146, 0x39e9, v112
	v_fma_f16 v93, v89, s29, -v143
	v_add_f16_e32 v41, v93, v41
	v_fma_f16 v93, v91, s36, v146
	v_add_f16_e32 v42, v93, v42
	v_mul_f16_e32 v93, 0xb1e1, v108
	v_fma_f16 v96, v89, s21, v93
	v_add_f16_e32 v70, v96, v70
	v_mul_f16_e32 v96, 0xbbdd, v112
	v_fma_f16 v93, v89, s21, -v93
	v_add_f16_e32 v68, v93, v68
	v_fma_f16 v93, v91, s23, v96
	v_add_f16_e32 v71, v93, v71
	v_mul_f16_e32 v93, 0x3b29, v108
	v_fma_f16 v99, v91, s33, v96
	v_fma_f16 v96, v89, s25, v93
	v_add_f16_e32 v74, v96, v74
	v_mul_f16_e32 v96, 0x3722, v112
	v_fma_f16 v93, v89, s25, -v93
	v_add_f16_e32 v78, v93, v78
	v_fma_f16 v93, v91, s31, v96
	v_sub_f16_e32 v115, v63, v54
	v_add_f16_e32 v73, v99, v73
	v_fma_f16 v99, v91, s27, v96
	v_add_f16_e32 v75, v93, v75
	v_add_f16_e32 v93, v25, v34
	v_add_f16_e32 v119, v54, v63
	v_mul_f16_e32 v139, 0x3a62, v115
	v_add_f16_e32 v76, v99, v76
	v_sub_f16_e32 v96, v34, v25
	v_mul_f16_e32 v142, 0xb8d2, v119
	v_fma_f16 v99, v93, s16, -v139
	v_add_f16_e32 v37, v99, v37
	v_fma_f16 v99, v96, s38, v142
	v_mul_f16_e32 v144, 0xb5c8, v115
	v_add_f16_e32 v150, v99, v38
	v_mul_f16_e32 v147, 0x3b76, v119
	v_fma_f16 v38, v93, s26, -v144
	v_add_f16_e32 v39, v38, v39
	v_fma_f16 v38, v96, s30, v147
	v_mul_f16_e32 v149, 0xb1e1, v115
	v_add_f16_e32 v40, v38, v40
	v_mul_f16_e32 v151, 0xbbdd, v119
	v_fma_f16 v38, v93, s21, -v149
	v_add_f16_e32 v41, v38, v41
	v_fma_f16 v38, v96, s23, v151
	v_add_f16_e32 v42, v38, v42
	v_mul_f16_e32 v38, 0x3964, v115
	v_fma_f16 v99, v93, s29, v38
	v_add_f16_e32 v70, v99, v70
	v_mul_f16_e32 v99, 0x39e9, v119
	v_fma_f16 v38, v93, s29, -v38
	v_add_f16_e32 v156, v38, v68
	v_fma_f16 v38, v96, s35, v99
	v_add_f16_e32 v157, v38, v71
	v_mul_f16_e32 v38, 0xbbb2, v115
	v_fma_f16 v68, v93, s15, v38
	v_add_f16_e32 v158, v68, v74
	v_mul_f16_e32 v68, 0xb461, v119
	v_fma_f16 v38, v93, s15, -v38
	v_sub_f16_e32 v123, v61, v53
	v_fma_f16 v102, v96, s36, v99
	v_add_f16_e32 v159, v38, v78
	v_fma_f16 v38, v96, s19, v68
	v_add_f16_e32 v99, v24, v23
	v_add_f16_e32 v126, v53, v61
	v_mul_f16_e32 v145, 0x3964, v123
	v_add_f16_e32 v155, v102, v73
	v_add_f16_e32 v160, v38, v75
	v_sub_f16_e32 v102, v23, v24
	v_mul_f16_e32 v148, 0x39e9, v126
	v_fma_f16 v38, v99, s29, -v145
	v_add_f16_e32 v38, v38, v37
	v_fma_f16 v37, v102, s35, v148
	v_add_f16_e32 v73, v37, v150
	v_mul_f16_e32 v150, 0xba62, v123
	v_mul_f16_e32 v152, 0xb8d2, v126
	v_fma_f16 v37, v99, s16, -v150
	v_fma_f16 v71, v96, s28, v68
	v_add_f16_e32 v37, v37, v39
	v_fma_f16 v39, v102, s20, v152
	v_mul_f16_e32 v153, 0x3b29, v123
	v_add_f16_e32 v76, v71, v76
	v_add_f16_e32 v71, v39, v40
	v_mul_f16_e32 v154, 0x3722, v126
	v_fma_f16 v39, v99, s25, -v153
	v_add_f16_e32 v40, v39, v41
	v_fma_f16 v39, v102, s31, v154
	v_add_f16_e32 v74, v39, v42
	v_mul_f16_e32 v39, 0xbbb2, v123
	v_fma_f16 v41, v99, s15, v39
	v_add_f16_e32 v68, v41, v70
	v_mul_f16_e32 v41, 0xb461, v126
	;; [unrolled: 3-line block ×3, first 2 shown]
	v_fma_f16 v41, v102, s19, v41
	v_mul_f16_e32 v42, 0x3bf7, v123
	v_fma_f16 v78, v102, s17, v155
	v_fma_f16 v39, v99, s15, -v39
	v_add_f16_e32 v75, v41, v157
	v_fma_f16 v41, v99, s14, v42
	v_add_f16_e32 v78, v78, v76
	v_fma_f16 v42, v99, s14, -v42
	v_fma_f16 v76, v102, s37, v155
	v_add_f16_e32 v39, v39, v156
	v_add_f16_e32 v41, v41, v158
	v_add_f16_e32 v42, v42, v159
	v_add_f16_e32 v76, v76, v160
	s_barrier
	s_and_saveexec_b64 s[4:5], s[0:1]
	s_cbranch_execz .LBB0_17
; %bb.16:
	v_mul_f16_e32 v155, 0x2de8, v67
	v_mul_f16_e32 v156, 0xbbf7, v69
	;; [unrolled: 1-line block ×4, first 2 shown]
	v_add_f16_e32 v94, v155, v94
	v_mul_f16_e32 v162, 0xb1e1, v77
	v_mul_f16_e32 v163, 0xbacd, v72
	;; [unrolled: 1-line block ×3, first 2 shown]
	v_add_f16_e32 v100, v157, v100
	v_sub_f16_e32 v97, v97, v156
	v_add_f16_e32 v94, v29, v94
	v_add_f16_e32 v103, v161, v103
	v_mul_f16_e32 v168, 0x3bb2, v80
	v_mul_f16_e32 v169, 0x39e9, v79
	;; [unrolled: 1-line block ×3, first 2 shown]
	v_add_f16_e32 v100, v29, v100
	v_add_f16_e32 v109, v163, v109
	;; [unrolled: 1-line block ×3, first 2 shown]
	v_sub_f16_e32 v106, v106, v162
	v_add_f16_e32 v94, v103, v94
	v_add_f16_e32 v103, v167, v111
	v_mul_f16_e32 v158, 0xbbb2, v69
	v_mul_f16_e32 v174, 0x35c8, v83
	;; [unrolled: 1-line block ×4, first 2 shown]
	v_add_f16_e32 v100, v109, v100
	v_add_f16_e32 v109, v169, v117
	v_add_f16_e32 v97, v106, v97
	v_sub_f16_e32 v106, v114, v168
	v_add_f16_e32 v94, v103, v94
	v_add_f16_e32 v103, v173, v118
	v_mul_f16_e32 v164, 0x3836, v77
	v_mul_f16_e32 v180, 0xbb29, v87
	;; [unrolled: 1-line block ×4, first 2 shown]
	v_sub_f16_e32 v104, v104, v158
	v_add_f16_e32 v100, v109, v100
	v_add_f16_e32 v109, v175, v125
	v_add_f16_e32 v97, v106, v97
	v_sub_f16_e32 v106, v122, v174
	v_add_f16_e32 v94, v103, v94
	v_add_f16_e32 v103, v179, v127
	v_mul_f16_e32 v170, 0x3964, v80
	v_mul_f16_e32 v186, 0xb836, v91
	v_mul_f16_e32 v187, 0x2de8, v89
	v_mul_f16_e32 v191, 0xb8d2, v93
	v_add_f16_e32 v104, v58, v104
	v_sub_f16_e32 v113, v113, v164
	v_add_f16_e32 v100, v109, v100
	v_add_f16_e32 v109, v181, v132
	v_add_f16_e32 v97, v106, v97
	v_sub_f16_e32 v106, v130, v180
	v_add_f16_e32 v94, v103, v94
	v_add_f16_e32 v103, v185, v133
	v_mul_f16_e32 v176, 0xbb29, v83
	v_mul_f16_e32 v192, 0x3a62, v96
	v_mul_f16_e32 v193, 0x3b76, v93
	v_mul_f16_e32 v197, 0x39e9, v99
	v_add_f16_e32 v104, v113, v104
	;; [unrolled: 12-line block ×3, first 2 shown]
	v_sub_f16_e32 v113, v129, v176
	v_add_f16_e32 v100, v109, v100
	v_add_f16_e32 v109, v193, v144
	v_add_f16_e32 v97, v106, v97
	v_sub_f16_e32 v106, v142, v192
	v_add_f16_e32 v94, v103, v94
	v_add_f16_e32 v103, v197, v145
	v_mul_f16_e32 v165, 0xb461, v72
	v_mul_f16_e32 v188, 0x3bf7, v91
	v_add_f16_e32 v107, v159, v107
	v_add_f16_e32 v104, v113, v104
	v_sub_f16_e32 v113, v135, v182
	v_add_f16_e32 v100, v109, v100
	v_add_f16_e32 v109, v199, v150
	;; [unrolled: 1-line block ×3, first 2 shown]
	v_sub_f16_e32 v106, v148, v198
	v_add_f16_e32 v94, v103, v94
	v_mul_f16_e32 v103, 0x3722, v84
	v_mul_f16_e32 v171, 0x3b76, v79
	;; [unrolled: 1-line block ×3, first 2 shown]
	v_add_f16_e32 v107, v29, v107
	v_add_f16_e32 v116, v165, v116
	;; [unrolled: 1-line block ×3, first 2 shown]
	v_sub_f16_e32 v113, v141, v188
	v_add_f16_e32 v100, v109, v100
	v_add_f16_e32 v97, v106, v97
	v_fma_f16 v106, v69, s31, v103
	v_mul_f16_e32 v109, 0xb8d2, v88
	v_mul_f16_e32 v177, 0xbacd, v82
	;; [unrolled: 1-line block ×3, first 2 shown]
	v_add_f16_e32 v107, v116, v107
	v_add_f16_e32 v116, v171, v124
	;; [unrolled: 1-line block ×3, first 2 shown]
	v_sub_f16_e32 v113, v147, v194
	v_add_f16_e32 v106, v58, v106
	v_fma_f16 v111, v77, s38, v109
	v_mul_f16_e32 v183, 0x2de8, v85
	v_add_f16_e32 v107, v116, v107
	v_add_f16_e32 v116, v177, v131
	;; [unrolled: 1-line block ×3, first 2 shown]
	v_sub_f16_e32 v113, v152, v200
	v_add_f16_e32 v106, v111, v106
	v_mul_f16_e32 v111, 0xbbdd, v92
	v_mul_f16_e32 v189, 0x39e9, v89
	v_add_f16_e32 v107, v116, v107
	v_add_f16_e32 v116, v183, v137
	v_add_f16_e32 v104, v113, v104
	v_fma_f16 v113, v80, s23, v111
	v_mul_f16_e32 v160, 0xba62, v69
	v_mul_f16_e32 v195, 0xbbdd, v93
	v_add_f16_e32 v107, v116, v107
	v_add_f16_e32 v116, v189, v143
	;; [unrolled: 1-line block ×3, first 2 shown]
	v_mul_f16_e32 v113, 0xb461, v98
	v_mul_f16_e32 v166, 0x3bb2, v77
	;; [unrolled: 1-line block ×3, first 2 shown]
	v_sub_f16_e32 v110, v110, v160
	v_add_f16_e32 v107, v116, v107
	v_add_f16_e32 v116, v195, v149
	v_fma_f16 v114, v83, s19, v113
	v_mul_f16_e32 v172, 0xb5c8, v80
	v_add_f16_e32 v110, v58, v110
	v_sub_f16_e32 v120, v120, v166
	v_add_f16_e32 v107, v116, v107
	v_add_f16_e32 v116, v201, v153
	;; [unrolled: 1-line block ×3, first 2 shown]
	v_mul_f16_e32 v114, 0x39e9, v105
	v_mul_f16_e32 v178, 0xb836, v83
	v_add_f16_e32 v110, v120, v110
	v_sub_f16_e32 v120, v128, v172
	v_add_f16_e32 v107, v116, v107
	v_fma_f16 v116, v87, s36, v114
	v_mul_f16_e32 v184, 0x3bf7, v87
	v_add_f16_e32 v110, v120, v110
	v_sub_f16_e32 v120, v134, v178
	v_add_f16_e32 v106, v116, v106
	v_mul_f16_e32 v116, 0x3b76, v112
	v_mul_f16_e32 v190, 0xb964, v91
	v_add_f16_e32 v110, v120, v110
	v_sub_f16_e32 v120, v140, v184
	v_fma_f16 v117, v91, s34, v116
	v_mul_f16_e32 v196, 0xb1e1, v96
	v_add_f16_e32 v110, v120, v110
	v_sub_f16_e32 v120, v146, v190
	v_add_f16_e32 v106, v117, v106
	v_mul_f16_e32 v117, 0x2de8, v119
	v_mul_f16_e32 v202, 0x3b29, v102
	v_add_f16_e32 v110, v120, v110
	v_sub_f16_e32 v120, v151, v196
	v_fma_f16 v118, v96, s37, v117
	v_add_f16_e32 v110, v120, v110
	v_sub_f16_e32 v120, v154, v202
	v_add_f16_e32 v106, v118, v106
	v_mul_f16_e32 v118, 0xbacd, v126
	v_add_f16_e32 v110, v120, v110
	v_fma_f16 v120, v102, s24, v118
	v_add_f16_e32 v106, v120, v106
	v_mul_f16_e32 v120, 0xbb29, v81
	v_fma_f16 v121, v67, s25, v120
	v_mul_f16_e32 v122, 0xba62, v86
	v_add_f16_e32 v30, v30, v29
	v_add_f16_e32 v121, v29, v121
	v_fma_f16 v124, v72, s16, v122
	v_add_f16_e32 v30, v31, v30
	v_add_f16_e32 v121, v124, v121
	v_mul_f16_e32 v124, 0x31e1, v90
	v_add_f16_e32 v30, v32, v30
	v_fma_f16 v125, v79, s21, v124
	v_add_f16_e32 v30, v35, v30
	v_add_f16_e32 v121, v125, v121
	v_mul_f16_e32 v125, 0x3bb2, v95
	;; [unrolled: 5-line block ×6, first 2 shown]
	v_add_f16_e32 v23, v28, v23
	v_fma_f16 v131, v99, s18, v130
	v_add_f16_e32 v17, v17, v23
	v_fma_f16 v23, v69, s27, v103
	v_add_f16_e32 v121, v131, v121
	v_mul_f16_e32 v131, 0x39e9, v84
	v_add_f16_e32 v23, v58, v23
	v_fma_f16 v24, v77, s20, v109
	v_fma_f16 v132, v69, s35, v131
	v_mul_f16_e32 v133, 0x2de8, v88
	v_add_f16_e32 v23, v24, v23
	v_fma_f16 v24, v80, s33, v111
	v_add_f16_e32 v132, v58, v132
	v_fma_f16 v134, v77, s37, v133
	;; [unrolled: 2-line block ×3, first 2 shown]
	v_add_f16_e32 v132, v134, v132
	v_mul_f16_e32 v134, 0xb8d2, v92
	v_add_f16_e32 v23, v24, v23
	v_fma_f16 v24, v87, s35, v114
	v_fma_f16 v135, v80, s38, v134
	v_add_f16_e32 v23, v24, v23
	v_fma_f16 v24, v91, s30, v116
	v_add_f16_e32 v132, v135, v132
	v_mul_f16_e32 v135, 0xbbdd, v98
	v_add_f16_e32 v23, v24, v23
	v_fma_f16 v24, v96, s17, v117
	v_fma_f16 v136, v83, s33, v135
	v_add_f16_e32 v23, v24, v23
	v_fma_f16 v24, v102, s22, v118
	v_add_f16_e32 v132, v136, v132
	v_mul_f16_e32 v136, 0xbacd, v105
	v_add_f16_e32 v23, v24, v23
	v_fma_f16 v24, v67, s25, -v120
	v_fma_f16 v137, v87, s22, v136
	v_add_f16_e32 v24, v29, v24
	v_fma_f16 v25, v72, s16, -v122
	v_add_f16_e32 v132, v137, v132
	v_mul_f16_e32 v137, 0xb461, v112
	v_add_f16_e32 v24, v25, v24
	v_fma_f16 v25, v79, s21, -v124
	v_fma_f16 v138, v91, s19, v137
	v_add_f16_e32 v24, v25, v24
	v_fma_f16 v25, v82, s15, -v125
	v_add_f16_e32 v132, v138, v132
	v_mul_f16_e32 v138, 0x3722, v119
	v_add_f16_e32 v24, v25, v24
	v_fma_f16 v25, v85, s29, -v127
	v_fma_f16 v139, v96, s27, v138
	v_add_f16_e32 v24, v25, v24
	v_fma_f16 v25, v89, s26, -v128
	v_add_f16_e32 v132, v139, v132
	v_mul_f16_e32 v139, 0x3b76, v126
	v_add_f16_e32 v24, v25, v24
	v_fma_f16 v25, v93, s14, -v129
	v_fma_f16 v140, v102, s30, v139
	v_add_f16_e32 v24, v25, v24
	v_fma_f16 v25, v99, s18, -v130
	v_add_f16_e32 v132, v140, v132
	v_mul_f16_e32 v140, 0xb964, v81
	v_add_f16_e32 v24, v25, v24
	v_fma_f16 v25, v69, s36, v131
	v_fma_f16 v141, v67, s29, v140
	v_mul_f16_e32 v142, 0xbbf7, v86
	v_add_f16_e32 v25, v58, v25
	v_fma_f16 v26, v77, s17, v133
	v_add_f16_e32 v141, v29, v141
	v_fma_f16 v143, v72, s14, v142
	;; [unrolled: 2-line block ×3, first 2 shown]
	v_add_f16_e32 v141, v143, v141
	v_mul_f16_e32 v143, 0xba62, v90
	v_add_f16_e32 v25, v26, v25
	v_fma_f16 v26, v83, s23, v135
	v_fma_f16 v144, v79, s16, v143
	v_add_f16_e32 v25, v26, v25
	v_fma_f16 v26, v87, s24, v136
	v_add_f16_e32 v141, v144, v141
	v_mul_f16_e32 v144, 0xb1e1, v95
	v_add_f16_e32 v25, v26, v25
	v_fma_f16 v26, v91, s28, v137
	v_fma_f16 v145, v82, s21, v144
	v_add_f16_e32 v25, v26, v25
	v_fma_f16 v26, v96, s31, v138
	v_add_f16_e32 v141, v145, v141
	v_mul_f16_e32 v145, 0x3836, v101
	v_add_f16_e32 v25, v26, v25
	v_fma_f16 v26, v102, s34, v139
	v_fma_f16 v146, v85, s18, v145
	v_add_f16_e32 v25, v26, v25
	v_fma_f16 v26, v67, s29, -v140
	v_add_f16_e32 v141, v146, v141
	v_mul_f16_e32 v146, 0x3bb2, v108
	v_add_f16_e32 v26, v29, v26
	v_fma_f16 v27, v72, s14, -v142
	v_fma_f16 v147, v89, s15, v146
	v_add_f16_e32 v26, v27, v26
	v_fma_f16 v27, v79, s16, -v143
	v_add_f16_e32 v141, v147, v141
	v_mul_f16_e32 v147, 0x3b29, v115
	v_add_f16_e32 v26, v27, v26
	v_fma_f16 v27, v82, s21, -v144
	;; [unrolled: 7-line block ×3, first 2 shown]
	v_fma_f16 v149, v99, s26, v148
	v_mul_f16_e32 v84, 0x3b76, v84
	v_add_f16_e32 v26, v27, v26
	v_fma_f16 v27, v93, s25, -v147
	v_add_f16_e32 v141, v149, v141
	v_fma_f16 v149, v69, s34, v84
	v_mul_f16_e32 v88, 0x39e9, v88
	v_add_f16_e32 v26, v27, v26
	v_fma_f16 v27, v99, s26, -v148
	v_add_f16_e32 v149, v58, v149
	v_fma_f16 v150, v77, s35, v88
	v_mul_f16_e32 v92, 0x3722, v92
	v_add_f16_e32 v17, v18, v17
	v_add_f16_e32 v18, v59, v58
	;; [unrolled: 1-line block ×3, first 2 shown]
	v_fma_f16 v27, v69, s30, v84
	v_add_f16_e32 v149, v150, v149
	v_fma_f16 v150, v80, s31, v92
	v_mul_f16_e32 v98, 0x2de8, v98
	v_add_f16_e32 v18, v60, v18
	v_add_f16_e32 v27, v58, v27
	v_fma_f16 v28, v77, s36, v88
	v_add_f16_e32 v149, v150, v149
	v_fma_f16 v150, v83, s37, v98
	v_mul_f16_e32 v105, 0xb461, v105
	v_add_f16_e32 v18, v62, v18
	v_add_f16_e32 v27, v28, v27
	;; [unrolled: 6-line block ×8, first 2 shown]
	v_fma_f16 v28, v67, s26, -v81
	v_add_f16_e32 v150, v151, v150
	v_fma_f16 v151, v79, s25, v90
	v_mul_f16_e32 v95, 0xbbf7, v95
	v_add_f16_e32 v18, v54, v18
	v_add_f16_e32 v28, v29, v28
	v_fma_f16 v29, v72, s29, -v86
	v_add_f16_e32 v150, v151, v150
	v_fma_f16 v151, v82, s14, v95
	v_mul_f16_e32 v101, 0xbbb2, v101
	v_add_f16_e32 v18, v55, v18
	v_add_f16_e32 v28, v29, v28
	;; [unrolled: 6-line block ×5, first 2 shown]
	v_fma_f16 v29, v89, s16, -v108
	v_add_f16_e32 v150, v151, v150
	v_fma_f16 v151, v99, s21, v123
	v_add_f16_e32 v18, v49, v18
	v_add_f16_e32 v28, v29, v28
	v_fma_f16 v29, v93, s18, -v115
	v_add_f16_e32 v150, v151, v150
	v_add_f16_e32 v17, v51, v17
	;; [unrolled: 1-line block ×4, first 2 shown]
	v_fma_f16 v29, v99, s21, -v123
	v_add_f16_e32 v28, v29, v28
	v_lshlrev_b32_e32 v29, 2, v45
	v_pack_b32_f16 v30, v150, v149
	v_pack_b32_f16 v17, v17, v18
	ds_write2_b32 v29, v17, v30 offset1:1
	v_pack_b32_f16 v17, v121, v106
	v_pack_b32_f16 v18, v141, v132
	ds_write2_b32 v29, v18, v17 offset0:2 offset1:3
	v_pack_b32_f16 v17, v100, v104
	v_pack_b32_f16 v18, v94, v97
	s_mov_b32 s14, 0x5040100
	ds_write2_b32 v29, v18, v17 offset0:4 offset1:5
	v_pack_b32_f16 v17, v107, v110
	v_perm_b32 v18, v70, v68, s14
	ds_write2_b32 v29, v17, v18 offset0:6 offset1:7
	v_perm_b32 v17, v76, v42, s14
	v_perm_b32 v18, v78, v41, s14
	ds_write2_b32 v29, v18, v17 offset0:8 offset1:9
	v_perm_b32 v17, v74, v40, s14
	;; [unrolled: 3-line block ×3, first 2 shown]
	v_perm_b32 v18, v71, v37, s14
	ds_write2_b32 v29, v18, v17 offset0:12 offset1:13
	v_pack_b32_f16 v17, v26, v25
	v_pack_b32_f16 v18, v24, v23
	ds_write2_b32 v29, v18, v17 offset0:14 offset1:15
	v_pack_b32_f16 v17, v28, v27
	ds_write_b32 v29, v17 offset:64
.LBB0_17:
	s_or_b64 exec, exec, s[4:5]
	v_add_u32_e32 v29, 0x400, v43
	v_add_u32_e32 v28, 0x800, v43
	s_waitcnt lgkmcnt(0)
	s_barrier
	ds_read2_b32 v[17:18], v43 offset1:153
	ds_read2_b32 v[25:26], v29 offset0:50 offset1:203
	ds_read2_b32 v[23:24], v28 offset0:100 offset1:253
	ds_read_b32 v27, v43 offset:3672
	s_and_saveexec_b64 s[4:5], s[2:3]
	s_cbranch_execz .LBB0_19
; %bb.18:
	ds_read_b32 v68, v43 offset:476
	ds_read2_b32 v[41:42], v29 offset0:16 offset1:169
	ds_read2_b32 v[39:40], v28 offset0:66 offset1:219
	v_add_u32_e32 v28, 0xd00, v43
	ds_read2_b32 v[37:38], v28 offset0:52 offset1:205
	s_waitcnt lgkmcnt(3)
	v_lshrrev_b32_e32 v70, 16, v68
	s_waitcnt lgkmcnt(2)
	v_lshrrev_b32_e32 v78, 16, v41
	v_lshrrev_b32_e32 v76, 16, v42
	s_waitcnt lgkmcnt(1)
	v_lshrrev_b32_e32 v75, 16, v39
	;; [unrolled: 3-line block ×3, first 2 shown]
	v_lshrrev_b32_e32 v73, 16, v38
.LBB0_19:
	s_or_b64 exec, exec, s[4:5]
	s_waitcnt lgkmcnt(3)
	v_lshrrev_b32_e32 v28, 16, v18
	v_mul_f16_sdwa v34, v4, v28 dst_sel:DWORD dst_unused:UNUSED_PAD src0_sel:WORD_1 src1_sel:DWORD
	s_waitcnt lgkmcnt(2)
	v_lshrrev_b32_e32 v29, 16, v25
	v_fma_f16 v34, v4, v18, v34
	v_mul_f16_sdwa v18, v4, v18 dst_sel:DWORD dst_unused:UNUSED_PAD src0_sel:WORD_1 src1_sel:DWORD
	v_fma_f16 v4, v4, v28, -v18
	v_mul_f16_sdwa v18, v5, v29 dst_sel:DWORD dst_unused:UNUSED_PAD src0_sel:WORD_1 src1_sel:DWORD
	v_lshrrev_b32_e32 v30, 16, v26
	v_fma_f16 v18, v5, v25, v18
	v_mul_f16_sdwa v25, v5, v25 dst_sel:DWORD dst_unused:UNUSED_PAD src0_sel:WORD_1 src1_sel:DWORD
	v_fma_f16 v5, v5, v29, -v25
	v_mul_f16_sdwa v25, v6, v30 dst_sel:DWORD dst_unused:UNUSED_PAD src0_sel:WORD_1 src1_sel:DWORD
	s_waitcnt lgkmcnt(1)
	v_lshrrev_b32_e32 v31, 16, v23
	v_fma_f16 v25, v6, v26, v25
	v_mul_f16_sdwa v26, v6, v26 dst_sel:DWORD dst_unused:UNUSED_PAD src0_sel:WORD_1 src1_sel:DWORD
	v_fma_f16 v6, v6, v30, -v26
	v_mul_f16_sdwa v26, v7, v31 dst_sel:DWORD dst_unused:UNUSED_PAD src0_sel:WORD_1 src1_sel:DWORD
	v_lshrrev_b32_e32 v32, 16, v24
	v_fma_f16 v26, v7, v23, v26
	v_mul_f16_sdwa v23, v7, v23 dst_sel:DWORD dst_unused:UNUSED_PAD src0_sel:WORD_1 src1_sel:DWORD
	v_fma_f16 v7, v7, v31, -v23
	v_mul_f16_sdwa v23, v21, v32 dst_sel:DWORD dst_unused:UNUSED_PAD src0_sel:WORD_1 src1_sel:DWORD
	s_waitcnt lgkmcnt(0)
	v_lshrrev_b32_e32 v33, 16, v27
	v_fma_f16 v23, v21, v24, v23
	v_mul_f16_sdwa v24, v21, v24 dst_sel:DWORD dst_unused:UNUSED_PAD src0_sel:WORD_1 src1_sel:DWORD
	v_fma_f16 v21, v21, v32, -v24
	v_mul_f16_sdwa v24, v22, v33 dst_sel:DWORD dst_unused:UNUSED_PAD src0_sel:WORD_1 src1_sel:DWORD
	v_fma_f16 v24, v22, v27, v24
	v_mul_f16_sdwa v27, v22, v27 dst_sel:DWORD dst_unused:UNUSED_PAD src0_sel:WORD_1 src1_sel:DWORD
	v_fma_f16 v22, v22, v33, -v27
	v_add_f16_e32 v27, v34, v24
	v_add_f16_e32 v28, v4, v22
	v_sub_f16_e32 v4, v4, v22
	v_add_f16_e32 v22, v18, v23
	v_add_f16_e32 v29, v5, v21
	v_sub_f16_e32 v24, v34, v24
	v_sub_f16_e32 v18, v18, v23
	;; [unrolled: 1-line block ×3, first 2 shown]
	v_add_f16_e32 v21, v25, v26
	v_add_f16_e32 v23, v6, v7
	v_sub_f16_e32 v25, v26, v25
	v_sub_f16_e32 v6, v7, v6
	v_add_f16_e32 v7, v22, v27
	v_add_f16_e32 v26, v29, v28
	v_sub_f16_e32 v30, v22, v27
	v_sub_f16_e32 v31, v29, v28
	;; [unrolled: 1-line block ×6, first 2 shown]
	v_add_f16_e32 v32, v25, v18
	v_add_f16_e32 v33, v6, v5
	v_sub_f16_e32 v34, v25, v18
	v_sub_f16_e32 v35, v6, v5
	;; [unrolled: 1-line block ×4, first 2 shown]
	v_add_f16_e32 v7, v21, v7
	v_add_f16_e32 v21, v23, v26
	v_sub_f16_e32 v25, v24, v25
	v_sub_f16_e32 v6, v4, v6
	v_add_f16_e32 v23, v32, v24
	v_add_f16_e32 v4, v33, v4
	;; [unrolled: 1-line block ×3, first 2 shown]
	v_add_f16_sdwa v17, v17, v21 dst_sel:DWORD dst_unused:UNUSED_PAD src0_sel:WORD_1 src1_sel:DWORD
	v_mul_f16_e32 v26, 0x3a52, v27
	v_mul_f16_e32 v27, 0x3a52, v28
	s_movk_i32 s19, 0x2b26
	v_mul_f16_e32 v28, 0x2b26, v22
	v_mul_f16_e32 v32, 0x2b26, v29
	;; [unrolled: 1-line block ×4, first 2 shown]
	s_mov_b32 s14, 0xbb00
	v_mul_f16_e32 v35, 0xbb00, v18
	v_mul_f16_e32 v36, 0xbb00, v5
	s_mov_b32 s20, 0xbcab
	s_movk_i32 s15, 0x39e0
	s_mov_b32 s16, 0xb9e0
	s_mov_b32 s21, 0xb574
	s_movk_i32 s17, 0x3574
	v_fma_f16 v7, v7, s20, v24
	v_fma_f16 v21, v21, s20, v17
	;; [unrolled: 1-line block ×4, first 2 shown]
	v_fma_f16 v28, v30, s15, -v28
	v_fma_f16 v32, v31, s15, -v32
	;; [unrolled: 1-line block ×4, first 2 shown]
	v_fma_f16 v30, v25, s21, v33
	v_fma_f16 v31, v6, s21, v34
	v_fma_f16 v18, v18, s14, -v33
	v_fma_f16 v5, v5, s14, -v34
	;; [unrolled: 1-line block ×4, first 2 shown]
	s_mov_b32 s18, 0xb70e
	v_add_f16_e32 v22, v22, v7
	v_add_f16_e32 v29, v29, v21
	;; [unrolled: 1-line block ×6, first 2 shown]
	v_fma_f16 v26, v23, s18, v30
	v_fma_f16 v27, v4, s18, v31
	;; [unrolled: 1-line block ×6, first 2 shown]
	v_add_f16_e32 v6, v27, v22
	v_sub_f16_e32 v25, v29, v26
	v_add_f16_e32 v30, v4, v7
	v_sub_f16_e32 v33, v28, v5
	v_add_f16_e32 v34, v18, v32
	v_add_f16_e32 v5, v5, v28
	v_sub_f16_e32 v18, v32, v18
	v_sub_f16_e32 v4, v7, v4
	v_add_f16_e32 v7, v23, v21
	v_sub_f16_e32 v31, v21, v23
	v_sub_f16_e32 v21, v22, v27
	v_add_f16_e32 v22, v26, v29
	v_pack_b32_f16 v17, v24, v17
	v_pack_b32_f16 v6, v6, v25
	;; [unrolled: 1-line block ×4, first 2 shown]
	s_barrier
	ds_write2_b32 v52, v17, v6 offset1:17
	v_pack_b32_f16 v6, v30, v31
	v_pack_b32_f16 v17, v33, v34
	ds_write2_b32 v52, v5, v4 offset0:68 offset1:85
	v_pack_b32_f16 v4, v21, v22
	ds_write2_b32 v52, v6, v17 offset0:34 offset1:51
	ds_write_b32 v52, v4 offset:408
	s_and_saveexec_b64 s[4:5], s[2:3]
	s_cbranch_execz .LBB0_21
; %bb.20:
	v_mul_f16_sdwa v5, v20, v73 dst_sel:DWORD dst_unused:UNUSED_PAD src0_sel:WORD_1 src1_sel:DWORD
	v_mul_f16_sdwa v17, v2, v75 dst_sel:DWORD dst_unused:UNUSED_PAD src0_sel:WORD_1 src1_sel:DWORD
	;; [unrolled: 1-line block ×7, first 2 shown]
	v_fma_f16 v5, v20, v38, v5
	v_mul_f16_sdwa v7, v3, v74 dst_sel:DWORD dst_unused:UNUSED_PAD src0_sel:WORD_1 src1_sel:DWORD
	v_fma_f16 v17, v2, v39, v17
	v_mul_f16_sdwa v22, v1, v76 dst_sel:DWORD dst_unused:UNUSED_PAD src0_sel:WORD_1 src1_sel:DWORD
	v_fma_f16 v23, v19, v37, v23
	v_fma_f16 v20, v20, v73, -v27
	v_mul_f16_sdwa v27, v0, v41 dst_sel:DWORD dst_unused:UNUSED_PAD src0_sel:WORD_1 src1_sel:DWORD
	v_fma_f16 v2, v2, v75, -v28
	v_mul_f16_sdwa v28, v3, v40 dst_sel:DWORD dst_unused:UNUSED_PAD src0_sel:WORD_1 src1_sel:DWORD
	;; [unrolled: 2-line block ×3, first 2 shown]
	v_fma_f16 v4, v0, v41, v4
	v_fma_f16 v7, v3, v40, v7
	;; [unrolled: 1-line block ×3, first 2 shown]
	v_fma_f16 v0, v0, v78, -v27
	v_fma_f16 v3, v3, v74, -v28
	;; [unrolled: 1-line block ×3, first 2 shown]
	v_sub_f16_e32 v6, v4, v5
	v_sub_f16_e32 v18, v7, v17
	;; [unrolled: 1-line block ×3, first 2 shown]
	v_add_f16_e32 v27, v20, v0
	v_add_f16_e32 v28, v2, v3
	v_add_f16_e32 v30, v19, v1
	v_sub_f16_e32 v0, v0, v20
	v_sub_f16_e32 v2, v3, v2
	;; [unrolled: 1-line block ×5, first 2 shown]
	v_add_f16_e32 v18, v18, v24
	v_add_f16_e32 v4, v5, v4
	;; [unrolled: 1-line block ×4, first 2 shown]
	v_sub_f16_e32 v3, v0, v2
	v_sub_f16_e32 v19, v2, v1
	v_add_f16_e32 v2, v2, v1
	v_add_f16_e32 v18, v18, v6
	;; [unrolled: 1-line block ×5, first 2 shown]
	v_sub_f16_e32 v6, v24, v6
	v_sub_f16_e32 v0, v1, v0
	v_mul_f16_e32 v25, 0x3846, v25
	v_sub_f16_e32 v29, v27, v28
	v_sub_f16_e32 v31, v28, v30
	v_add_f16_e32 v28, v28, v33
	v_sub_f16_e32 v7, v4, v5
	v_sub_f16_e32 v22, v5, v17
	v_add_f16_e32 v5, v5, v35
	v_mul_f16_e32 v19, 0x3846, v19
	v_mul_f16_e32 v24, 0xbb00, v6
	;; [unrolled: 1-line block ×3, first 2 shown]
	v_fma_f16 v26, v21, s21, v25
	v_mul_f16_e32 v29, 0x3a52, v29
	v_mul_f16_e32 v32, 0x2b26, v31
	v_add_f16_e32 v33, v70, v28
	v_mul_f16_e32 v7, 0x3a52, v7
	v_mul_f16_e32 v23, 0x2b26, v22
	v_add_f16_e32 v35, v68, v5
	v_fma_f16 v20, v3, s21, v19
	v_fma_f16 v21, v21, s17, -v24
	v_sub_f16_e32 v24, v30, v27
	v_sub_f16_e32 v4, v17, v4
	v_fma_f16 v1, v3, s17, -v1
	v_fma_f16 v0, v0, s14, -v19
	v_fma_f16 v28, v28, s20, v33
	v_fma_f16 v22, v22, s19, v7
	;; [unrolled: 1-line block ×4, first 2 shown]
	v_fma_f16 v27, v24, s16, -v29
	v_fma_f16 v7, v4, s16, -v7
	v_fma_f16 v1, v2, s18, v1
	v_fma_f16 v17, v24, s15, -v32
	v_fma_f16 v6, v6, s14, -v25
	v_fma_f16 v0, v2, s18, v0
	v_fma_f16 v2, v4, s15, -v23
	v_fma_f16 v21, v18, s18, v21
	v_add_f16_e32 v27, v27, v28
	v_add_f16_e32 v7, v7, v5
	;; [unrolled: 1-line block ×3, first 2 shown]
	v_fma_f16 v6, v18, s18, v6
	v_add_f16_e32 v2, v2, v5
	v_fma_f16 v26, v18, s18, v26
	v_fma_f16 v31, v31, s19, v29
	v_add_f16_e32 v22, v22, v5
	v_sub_f16_e32 v3, v7, v1
	v_sub_f16_e32 v18, v17, v6
	v_add_f16_e32 v4, v0, v2
	v_add_f16_e32 v5, v6, v17
	v_sub_f16_e32 v0, v2, v0
	v_sub_f16_e32 v2, v27, v21
	v_add_f16_e32 v1, v1, v7
	v_mul_u32_u24_e32 v17, 0x77, v46
	v_add_f16_e32 v31, v31, v28
	v_add_f16_e32 v29, v21, v27
	v_add_lshl_u32 v17, v17, v47, 2
	v_pack_b32_f16 v1, v1, v2
	v_pack_b32_f16 v0, v0, v5
	v_add_f16_e32 v34, v26, v31
	v_sub_f16_e32 v36, v22, v20
	v_sub_f16_e32 v6, v31, v26
	v_add_f16_e32 v7, v20, v22
	ds_write2_b32 v17, v1, v0 offset0:34 offset1:51
	v_pack_b32_f16 v0, v4, v18
	v_pack_b32_f16 v1, v3, v29
	;; [unrolled: 1-line block ×4, first 2 shown]
	ds_write2_b32 v17, v0, v1 offset0:68 offset1:85
	v_pack_b32_f16 v0, v36, v34
	ds_write2_b32 v17, v19, v6 offset1:17
	ds_write_b32 v17, v0 offset:408
.LBB0_21:
	s_or_b64 exec, exec, s[4:5]
	s_waitcnt lgkmcnt(0)
	s_barrier
	ds_read_b32 v0, v43
	ds_read2_b32 v[4:5], v43 offset0:119 offset1:238
	v_add_u32_e32 v3, 0x400, v43
	ds_read2_b32 v[6:7], v3 offset0:101 offset1:220
	v_add_u32_e32 v2, 0x800, v43
	ds_read2_b32 v[17:18], v2 offset0:83 offset1:202
	s_waitcnt lgkmcnt(2)
	v_lshrrev_b32_e32 v22, 16, v4
	v_mul_f16_sdwa v30, v8, v22 dst_sel:DWORD dst_unused:UNUSED_PAD src0_sel:WORD_1 src1_sel:DWORD
	v_lshrrev_b32_e32 v23, 16, v5
	v_fma_f16 v30, v8, v4, v30
	v_mul_f16_sdwa v4, v8, v4 dst_sel:DWORD dst_unused:UNUSED_PAD src0_sel:WORD_1 src1_sel:DWORD
	v_fma_f16 v4, v8, v22, -v4
	v_mul_f16_sdwa v8, v9, v23 dst_sel:DWORD dst_unused:UNUSED_PAD src0_sel:WORD_1 src1_sel:DWORD
	s_waitcnt lgkmcnt(1)
	v_lshrrev_b32_e32 v24, 16, v6
	v_fma_f16 v8, v9, v5, v8
	v_mul_f16_sdwa v5, v9, v5 dst_sel:DWORD dst_unused:UNUSED_PAD src0_sel:WORD_1 src1_sel:DWORD
	v_fma_f16 v5, v9, v23, -v5
	v_mul_f16_sdwa v9, v10, v24 dst_sel:DWORD dst_unused:UNUSED_PAD src0_sel:WORD_1 src1_sel:DWORD
	v_add_u32_e32 v1, 0xc00, v43
	v_lshrrev_b32_e32 v25, 16, v7
	v_fma_f16 v9, v10, v6, v9
	v_mul_f16_sdwa v6, v10, v6 dst_sel:DWORD dst_unused:UNUSED_PAD src0_sel:WORD_1 src1_sel:DWORD
	ds_read2_b32 v[19:20], v1 offset0:65 offset1:184
	v_fma_f16 v6, v10, v24, -v6
	v_mul_f16_sdwa v10, v11, v25 dst_sel:DWORD dst_unused:UNUSED_PAD src0_sel:WORD_1 src1_sel:DWORD
	s_waitcnt lgkmcnt(1)
	v_lshrrev_b32_e32 v26, 16, v17
	v_fma_f16 v10, v11, v7, v10
	v_mul_f16_sdwa v7, v11, v7 dst_sel:DWORD dst_unused:UNUSED_PAD src0_sel:WORD_1 src1_sel:DWORD
	v_fma_f16 v7, v11, v25, -v7
	v_mul_f16_sdwa v11, v12, v26 dst_sel:DWORD dst_unused:UNUSED_PAD src0_sel:WORD_1 src1_sel:DWORD
	v_lshrrev_b32_e32 v27, 16, v18
	v_fma_f16 v11, v12, v17, v11
	v_mul_f16_sdwa v17, v12, v17 dst_sel:DWORD dst_unused:UNUSED_PAD src0_sel:WORD_1 src1_sel:DWORD
	v_fma_f16 v12, v12, v26, -v17
	v_mul_f16_sdwa v17, v13, v27 dst_sel:DWORD dst_unused:UNUSED_PAD src0_sel:WORD_1 src1_sel:DWORD
	s_waitcnt lgkmcnt(0)
	v_lshrrev_b32_e32 v28, 16, v19
	v_fma_f16 v17, v13, v18, v17
	v_mul_f16_sdwa v18, v13, v18 dst_sel:DWORD dst_unused:UNUSED_PAD src0_sel:WORD_1 src1_sel:DWORD
	v_fma_f16 v13, v13, v27, -v18
	v_mul_f16_sdwa v18, v14, v28 dst_sel:DWORD dst_unused:UNUSED_PAD src0_sel:WORD_1 src1_sel:DWORD
	v_lshrrev_b32_e32 v29, 16, v20
	v_fma_f16 v18, v14, v19, v18
	v_mul_f16_sdwa v19, v14, v19 dst_sel:DWORD dst_unused:UNUSED_PAD src0_sel:WORD_1 src1_sel:DWORD
	v_fma_f16 v14, v14, v28, -v19
	v_mul_f16_sdwa v19, v15, v29 dst_sel:DWORD dst_unused:UNUSED_PAD src0_sel:WORD_1 src1_sel:DWORD
	v_fma_f16 v19, v15, v20, v19
	v_mul_f16_sdwa v20, v15, v20 dst_sel:DWORD dst_unused:UNUSED_PAD src0_sel:WORD_1 src1_sel:DWORD
	v_fma_f16 v15, v15, v29, -v20
	v_add_f16_e32 v22, v4, v15
	v_sub_f16_e32 v4, v4, v15
	v_add_f16_e32 v20, v30, v19
	v_add_f16_e32 v24, v5, v14
	;; [unrolled: 1-line block ×3, first 2 shown]
	v_sub_f16_e32 v19, v30, v19
	v_sub_f16_e32 v5, v5, v14
	;; [unrolled: 1-line block ×3, first 2 shown]
	v_mul_f16_e32 v14, 0x3924, v4
	s_movk_i32 s2, 0x3be1
	v_sub_f16_e32 v15, v10, v11
	v_sub_f16_e32 v17, v7, v12
	v_add_f16_e32 v23, v8, v18
	v_add_f16_e32 v26, v6, v13
	v_sub_f16_e32 v8, v8, v18
	v_sub_f16_e32 v6, v6, v13
	v_mul_f16_e32 v13, 0x3924, v19
	v_fma_f16 v14, v5, s2, v14
	s_movk_i32 s3, 0x3aee
	v_mul_f16_e32 v30, 0xb924, v15
	v_mul_f16_e32 v31, 0xb924, v17
	v_fma_f16 v13, v8, s2, v13
	v_fma_f16 v14, v6, s3, v14
	s_movk_i32 s4, 0x3579
	v_fma_f16 v30, v19, s2, v30
	v_fma_f16 v31, v4, s2, v31
	s_mov_b32 s2, 0xbaee
	v_fma_f16 v14, v17, s4, v14
	s_mov_b32 s16, 0xb924
	v_fma_f16 v31, v6, s2, v31
	v_add_f16_e32 v35, v17, v4
	v_mul_f16_e32 v17, 0x3be1, v17
	v_fma_f16 v13, v9, s3, v13
	v_fma_f16 v31, v5, s4, v31
	v_sub_f16_e32 v35, v35, v5
	v_fma_f16 v5, v5, s16, -v17
	v_fma_f16 v13, v15, s4, v13
	v_fma_f16 v30, v9, s2, v30
	v_add_f16_e32 v34, v15, v19
	v_add_f16_e32 v40, v23, v20
	v_mul_f16_e32 v15, 0x3be1, v15
	v_fma_f16 v5, v6, s3, v5
	v_fma_f16 v30, v8, s4, v30
	v_sub_f16_e32 v34, v34, v8
	v_fma_f16 v8, v8, s16, -v15
	v_fma_f16 v4, v4, s4, v5
	v_add_f16_e32 v5, v25, v40
	v_lshrrev_b32_e32 v21, 16, v0
	s_movk_i32 s5, 0x3a21
	v_add_f16_e32 v41, v24, v22
	v_fma_f16 v8, v9, s3, v8
	v_add_f16_e32 v5, v10, v5
	v_fma_f16 v18, v20, s5, v0
	v_fma_f16 v27, v22, s5, v21
	s_movk_i32 s14, 0x318f
	v_add_f16_e32 v28, v10, v11
	v_add_f16_e32 v29, v7, v12
	v_fma_f16 v6, v19, s4, v8
	v_add_f16_e32 v8, v26, v41
	v_add_f16_e32 v5, v11, v5
	v_fma_f16 v18, v23, s14, v18
	v_fma_f16 v27, v24, s14, v27
	;; [unrolled: 1-line block ×4, first 2 shown]
	v_add_f16_e32 v38, v25, v0
	v_add_f16_e32 v7, v7, v8
	;; [unrolled: 1-line block ×3, first 2 shown]
	v_fma_f16 v0, v23, s5, v0
	v_fma_f16 v8, v24, s5, v21
	v_fma_f16 v18, v25, -0.5, v18
	v_fma_f16 v27, v26, -0.5, v27
	s_mov_b32 s15, 0xbb84
	v_fma_f16 v32, v20, s14, v32
	v_fma_f16 v33, v22, s14, v33
	v_add_f16_e32 v7, v12, v7
	v_fma_f16 v0, v28, s14, v0
	v_fma_f16 v8, v29, s14, v8
	;; [unrolled: 1-line block ×4, first 2 shown]
	v_fma_f16 v32, v25, -0.5, v32
	v_fma_f16 v33, v26, -0.5, v33
	v_add_f16_e32 v39, v26, v21
	v_add_f16_e32 v42, v28, v40
	;; [unrolled: 1-line block ×4, first 2 shown]
	v_fma_f16 v0, v25, -0.5, v0
	v_fma_f16 v8, v26, -0.5, v8
	v_sub_f16_e32 v18, v18, v14
	v_add_f16_e32 v27, v13, v27
	v_fma_f16 v32, v23, s15, v32
	v_fma_f16 v33, v24, s15, v33
	v_fma_f16 v38, v42, -0.5, v38
	v_fma_f16 v39, v45, -0.5, v39
	v_fma_f16 v0, v20, s15, v0
	v_fma_f16 v8, v22, s15, v8
	v_pack_b32_f16 v5, v5, v7
	v_sub_f16_e32 v32, v32, v31
	v_add_f16_e32 v33, v30, v33
	v_mul_f16_e32 v36, 0x3aee, v34
	v_mul_f16_e32 v37, 0x3aee, v35
	v_fma_f16 v35, v35, s2, v38
	v_fma_f16 v34, v34, s3, v39
	v_sub_f16_e32 v0, v0, v4
	v_add_f16_e32 v8, v6, v8
	ds_write_b32 v43, v5
	v_pack_b32_f16 v5, v18, v27
	v_fma_f16 v4, v4, 2.0, v0
	v_fma_f16 v6, v6, -2.0, v8
	ds_write_b32 v43, v5 offset:476
	v_pack_b32_f16 v5, v32, v33
	v_pack_b32_f16 v7, v35, v34
	v_add_u32_e32 v9, 0x200, v43
	v_fma_f16 v31, v31, 2.0, v32
	v_fma_f16 v30, v30, -2.0, v33
	v_fma_f16 v37, v37, 2.0, v35
	v_fma_f16 v36, v36, -2.0, v34
	ds_write2_b32 v9, v5, v7 offset0:110 offset1:229
	v_pack_b32_f16 v0, v0, v8
	v_pack_b32_f16 v4, v4, v6
	v_add_u32_e32 v5, 0x600, v43
	v_fma_f16 v14, v14, 2.0, v18
	v_fma_f16 v13, v13, -2.0, v27
	ds_write2_b32 v5, v0, v4 offset0:92 offset1:211
	v_pack_b32_f16 v0, v37, v36
	v_pack_b32_f16 v4, v31, v30
	v_add_u32_e32 v5, 0xa00, v43
	ds_write2_b32 v5, v0, v4 offset0:74 offset1:193
	v_pack_b32_f16 v0, v14, v13
	ds_write_b32 v43, v0 offset:3808
	s_waitcnt lgkmcnt(0)
	s_barrier
	s_and_b64 exec, exec, s[0:1]
	s_cbranch_execz .LBB0_23
; %bb.22:
	global_load_dword v11, v43, s[6:7]
	ds_read_b32 v12, v43
	v_mad_u64_u32 v[4:5], s[0:1], s10, v16, 0
	v_mad_u64_u32 v[6:7], s[0:1], s8, v44, 0
	s_mov_b32 s14, 0x1e98801f
	s_mov_b32 s15, 0x3f4e9880
	v_mad_u64_u32 v[8:9], s[0:1], s11, v16, v[5:6]
	v_mov_b32_e32 v13, s13
	s_movk_i32 s16, 0x1ff
	v_mad_u64_u32 v[9:10], s[0:1], s9, v44, v[7:8]
	s_waitcnt lgkmcnt(0)
	v_lshrrev_b32_e32 v10, 16, v12
	v_mov_b32_e32 v5, v8
	v_mov_b32_e32 v7, v9
	v_lshlrev_b64 v[4:5], 2, v[4:5]
	v_lshlrev_b64 v[6:7], 2, v[6:7]
	s_movk_i32 s10, 0xffe
	v_mov_b32_e32 v0, 0x7c00
	s_movk_i32 s18, 0x40f
	s_mov_b32 s17, 0x8000
	s_waitcnt vmcnt(0)
	v_mul_f16_sdwa v8, v10, v11 dst_sel:DWORD dst_unused:UNUSED_PAD src0_sel:DWORD src1_sel:WORD_1
	v_fma_f16 v8, v12, v11, v8
	v_mul_f16_sdwa v9, v12, v11 dst_sel:DWORD dst_unused:UNUSED_PAD src0_sel:DWORD src1_sel:WORD_1
	v_cvt_f32_f16_e32 v8, v8
	v_fma_f16 v9, v11, v10, -v9
	v_cvt_f32_f16_e32 v10, v9
	v_add_co_u32_e32 v12, vcc, s12, v4
	v_cvt_f64_f32_e32 v[8:9], v8
	v_cvt_f64_f32_e32 v[10:11], v10
	v_addc_co_u32_e32 v13, vcc, v13, v5, vcc
	v_mul_f64 v[8:9], v[8:9], s[14:15]
	v_mul_f64 v[4:5], v[10:11], s[14:15]
	v_add_co_u32_e32 v6, vcc, v12, v6
	v_addc_co_u32_e32 v7, vcc, v13, v7, vcc
	v_and_or_b32 v8, v9, s16, v8
	v_and_or_b32 v4, v5, s16, v4
	v_cmp_ne_u32_e32 vcc, 0, v8
	v_lshrrev_b32_e32 v10, 8, v9
	v_bfe_u32 v11, v9, 20, 11
	v_cndmask_b32_e64 v8, 0, 1, vcc
	v_cmp_ne_u32_e32 vcc, 0, v4
	v_lshrrev_b32_e32 v12, 8, v5
	v_bfe_u32 v13, v5, 20, 11
	v_sub_u32_e32 v14, 0x3f1, v11
	v_cndmask_b32_e64 v4, 0, 1, vcc
	v_and_or_b32 v8, v10, s10, v8
	v_sub_u32_e32 v15, 0x3f1, v13
	v_med3_i32 v10, v14, 0, 13
	v_and_or_b32 v4, v12, s10, v4
	v_or_b32_e32 v14, 0x1000, v8
	v_add_u32_e32 v11, 0xfffffc10, v11
	v_med3_i32 v12, v15, 0, 13
	v_cmp_ne_u32_e32 vcc, 0, v8
	v_or_b32_e32 v16, 0x1000, v4
	v_lshrrev_b32_e32 v18, v10, v14
	v_add_u32_e32 v13, 0xfffffc10, v13
	v_lshl_or_b32 v15, v11, 12, v8
	v_cndmask_b32_e64 v8, 0, 1, vcc
	v_cmp_ne_u32_e32 vcc, 0, v4
	v_lshrrev_b32_e32 v19, v12, v16
	v_lshlrev_b32_e32 v10, v10, v18
	v_lshl_or_b32 v17, v13, 12, v4
	v_cndmask_b32_e64 v4, 0, 1, vcc
	v_lshlrev_b32_e32 v12, v12, v19
	v_cmp_ne_u32_e32 vcc, v10, v14
	v_cndmask_b32_e64 v10, 0, 1, vcc
	v_cmp_ne_u32_e32 vcc, v12, v16
	v_cndmask_b32_e64 v12, 0, 1, vcc
	v_or_b32_e32 v10, v18, v10
	v_cmp_gt_i32_e32 vcc, 1, v11
	v_cndmask_b32_e32 v10, v15, v10, vcc
	v_or_b32_e32 v12, v19, v12
	v_cmp_gt_i32_e32 vcc, 1, v13
	v_and_b32_e32 v14, 7, v10
	v_cndmask_b32_e32 v12, v17, v12, vcc
	v_cmp_lt_i32_e32 vcc, 5, v14
	v_cmp_eq_u32_e64 s[0:1], 3, v14
	v_lshrrev_b32_e32 v10, 2, v10
	v_and_b32_e32 v15, 7, v12
	s_or_b64 vcc, s[0:1], vcc
	v_cmp_lt_i32_e64 s[2:3], 5, v15
	v_cmp_eq_u32_e64 s[4:5], 3, v15
	v_addc_co_u32_e32 v10, vcc, 0, v10, vcc
	v_lshrrev_b32_e32 v12, 2, v12
	s_or_b64 vcc, s[4:5], s[2:3]
	v_addc_co_u32_e32 v12, vcc, 0, v12, vcc
	v_cmp_gt_i32_e32 vcc, 31, v11
	v_cndmask_b32_e32 v10, v0, v10, vcc
	v_cmp_gt_i32_e32 vcc, 31, v13
	v_lshl_or_b32 v8, v8, 9, v0
	v_cndmask_b32_e32 v12, v0, v12, vcc
	v_cmp_eq_u32_e32 vcc, s18, v11
	v_lshrrev_b32_e32 v9, 16, v9
	v_lshl_or_b32 v4, v4, 9, v0
	v_cndmask_b32_e32 v8, v10, v8, vcc
	v_cmp_eq_u32_e32 vcc, s18, v13
	v_lshrrev_b32_e32 v5, 16, v5
	v_cndmask_b32_e32 v4, v12, v4, vcc
	v_and_or_b32 v8, v9, s17, v8
	v_and_or_b32 v4, v5, s17, v4
	v_and_b32_e32 v5, 0xffff, v8
	v_lshl_or_b32 v4, v4, 16, v5
	global_store_dword v[6:7], v4, off
	global_load_dword v8, v43, s[6:7] offset:252
	ds_read2_b32 v[4:5], v43 offset0:63 offset1:126
	s_mul_i32 s0, s9, 0xfc
	s_mul_hi_u32 s9, s8, 0xfc
	s_mulk_i32 s8, 0xfc
	s_add_i32 s9, s9, s0
	s_waitcnt lgkmcnt(0)
	v_lshrrev_b32_e32 v9, 16, v4
	v_add_co_u32_e32 v6, vcc, s8, v6
	s_waitcnt vmcnt(0)
	v_mul_f16_sdwa v10, v9, v8 dst_sel:DWORD dst_unused:UNUSED_PAD src0_sel:DWORD src1_sel:WORD_1
	v_fma_f16 v10, v4, v8, v10
	v_mul_f16_sdwa v4, v4, v8 dst_sel:DWORD dst_unused:UNUSED_PAD src0_sel:DWORD src1_sel:WORD_1
	v_cvt_f32_f16_e32 v10, v10
	v_fma_f16 v4, v8, v9, -v4
	v_cvt_f32_f16_e32 v4, v4
	v_cvt_f64_f32_e32 v[8:9], v10
	v_cvt_f64_f32_e32 v[10:11], v4
	v_mov_b32_e32 v4, s9
	v_mul_f64 v[8:9], v[8:9], s[14:15]
	v_addc_co_u32_e32 v7, vcc, v7, v4, vcc
	v_mul_f64 v[10:11], v[10:11], s[14:15]
	v_and_or_b32 v4, v9, s16, v8
	v_cmp_ne_u32_e32 vcc, 0, v4
	v_lshrrev_b32_e32 v8, 8, v9
	v_and_or_b32 v10, v11, s16, v10
	v_bfe_u32 v12, v9, 20, 11
	v_cndmask_b32_e64 v4, 0, 1, vcc
	v_cmp_ne_u32_e32 vcc, 0, v10
	v_lshrrev_b32_e32 v13, 8, v11
	v_bfe_u32 v14, v11, 20, 11
	v_sub_u32_e32 v15, 0x3f1, v12
	v_cndmask_b32_e64 v10, 0, 1, vcc
	v_and_or_b32 v4, v8, s10, v4
	v_sub_u32_e32 v16, 0x3f1, v14
	v_med3_i32 v8, v15, 0, 13
	v_and_or_b32 v10, v13, s10, v10
	v_or_b32_e32 v15, 0x1000, v4
	v_add_u32_e32 v12, 0xfffffc10, v12
	v_med3_i32 v13, v16, 0, 13
	v_cmp_ne_u32_e32 vcc, 0, v4
	v_or_b32_e32 v17, 0x1000, v10
	v_lshrrev_b32_e32 v19, v8, v15
	v_add_u32_e32 v14, 0xfffffc10, v14
	v_lshl_or_b32 v16, v12, 12, v4
	v_cndmask_b32_e64 v4, 0, 1, vcc
	v_cmp_ne_u32_e32 vcc, 0, v10
	v_lshrrev_b32_e32 v20, v13, v17
	v_lshlrev_b32_e32 v8, v8, v19
	v_lshl_or_b32 v18, v14, 12, v10
	v_cndmask_b32_e64 v10, 0, 1, vcc
	v_lshlrev_b32_e32 v13, v13, v20
	v_cmp_ne_u32_e32 vcc, v8, v15
	v_cndmask_b32_e64 v8, 0, 1, vcc
	v_cmp_ne_u32_e32 vcc, v13, v17
	v_cndmask_b32_e64 v13, 0, 1, vcc
	v_or_b32_e32 v8, v19, v8
	v_cmp_gt_i32_e32 vcc, 1, v12
	v_cndmask_b32_e32 v8, v16, v8, vcc
	v_or_b32_e32 v13, v20, v13
	v_cmp_gt_i32_e32 vcc, 1, v14
	v_and_b32_e32 v15, 7, v8
	v_cndmask_b32_e32 v13, v18, v13, vcc
	v_cmp_lt_i32_e32 vcc, 5, v15
	v_cmp_eq_u32_e64 s[0:1], 3, v15
	v_lshrrev_b32_e32 v8, 2, v8
	v_and_b32_e32 v16, 7, v13
	s_or_b64 vcc, s[0:1], vcc
	v_cmp_lt_i32_e64 s[2:3], 5, v16
	v_cmp_eq_u32_e64 s[4:5], 3, v16
	v_addc_co_u32_e32 v8, vcc, 0, v8, vcc
	v_lshrrev_b32_e32 v13, 2, v13
	s_or_b64 vcc, s[4:5], s[2:3]
	v_addc_co_u32_e32 v13, vcc, 0, v13, vcc
	v_cmp_gt_i32_e32 vcc, 31, v12
	v_cndmask_b32_e32 v8, v0, v8, vcc
	v_cmp_gt_i32_e32 vcc, 31, v14
	v_lshl_or_b32 v4, v4, 9, v0
	v_cndmask_b32_e32 v13, v0, v13, vcc
	v_cmp_eq_u32_e32 vcc, s18, v12
	v_lshrrev_b32_e32 v9, 16, v9
	v_lshl_or_b32 v10, v10, 9, v0
	v_cndmask_b32_e32 v4, v8, v4, vcc
	v_cmp_eq_u32_e32 vcc, s18, v14
	v_lshrrev_b32_e32 v11, 16, v11
	v_cndmask_b32_e32 v8, v13, v10, vcc
	v_and_or_b32 v4, v9, s17, v4
	v_and_or_b32 v8, v11, s17, v8
	v_and_b32_e32 v4, 0xffff, v4
	v_lshl_or_b32 v4, v8, 16, v4
	global_store_dword v[6:7], v4, off
	global_load_dword v4, v43, s[6:7] offset:504
	v_lshrrev_b32_e32 v8, 16, v5
	v_mov_b32_e32 v10, s9
	v_add_co_u32_e32 v6, vcc, s8, v6
	v_addc_co_u32_e32 v7, vcc, v7, v10, vcc
	s_waitcnt vmcnt(0)
	v_mul_f16_sdwa v9, v8, v4 dst_sel:DWORD dst_unused:UNUSED_PAD src0_sel:DWORD src1_sel:WORD_1
	v_fma_f16 v9, v5, v4, v9
	v_mul_f16_sdwa v5, v5, v4 dst_sel:DWORD dst_unused:UNUSED_PAD src0_sel:DWORD src1_sel:WORD_1
	v_cvt_f32_f16_e32 v9, v9
	v_fma_f16 v4, v4, v8, -v5
	v_cvt_f32_f16_e32 v8, v4
	v_cvt_f64_f32_e32 v[4:5], v9
	v_cvt_f64_f32_e32 v[8:9], v8
	v_mul_f64 v[4:5], v[4:5], s[14:15]
	v_mul_f64 v[8:9], v[8:9], s[14:15]
	v_and_or_b32 v4, v5, s16, v4
	v_cmp_ne_u32_e32 vcc, 0, v4
	v_and_or_b32 v8, v9, s16, v8
	v_lshrrev_b32_e32 v10, 8, v5
	v_bfe_u32 v11, v5, 20, 11
	v_cndmask_b32_e64 v4, 0, 1, vcc
	v_cmp_ne_u32_e32 vcc, 0, v8
	v_lshrrev_b32_e32 v12, 8, v9
	v_bfe_u32 v13, v9, 20, 11
	v_sub_u32_e32 v14, 0x3f1, v11
	v_cndmask_b32_e64 v8, 0, 1, vcc
	v_and_or_b32 v4, v10, s10, v4
	v_sub_u32_e32 v15, 0x3f1, v13
	v_med3_i32 v10, v14, 0, 13
	v_and_or_b32 v8, v12, s10, v8
	v_or_b32_e32 v14, 0x1000, v4
	v_add_u32_e32 v11, 0xfffffc10, v11
	v_med3_i32 v12, v15, 0, 13
	v_cmp_ne_u32_e32 vcc, 0, v4
	v_or_b32_e32 v16, 0x1000, v8
	v_lshrrev_b32_e32 v18, v10, v14
	v_add_u32_e32 v13, 0xfffffc10, v13
	v_lshl_or_b32 v15, v11, 12, v4
	v_cndmask_b32_e64 v4, 0, 1, vcc
	v_cmp_ne_u32_e32 vcc, 0, v8
	v_lshrrev_b32_e32 v19, v12, v16
	v_lshlrev_b32_e32 v10, v10, v18
	v_lshl_or_b32 v17, v13, 12, v8
	v_cndmask_b32_e64 v8, 0, 1, vcc
	v_lshlrev_b32_e32 v12, v12, v19
	v_cmp_ne_u32_e32 vcc, v10, v14
	v_cndmask_b32_e64 v10, 0, 1, vcc
	v_cmp_ne_u32_e32 vcc, v12, v16
	v_cndmask_b32_e64 v12, 0, 1, vcc
	v_or_b32_e32 v10, v18, v10
	v_cmp_gt_i32_e32 vcc, 1, v11
	v_cndmask_b32_e32 v10, v15, v10, vcc
	v_or_b32_e32 v12, v19, v12
	v_cmp_gt_i32_e32 vcc, 1, v13
	v_and_b32_e32 v14, 7, v10
	v_cndmask_b32_e32 v12, v17, v12, vcc
	v_cmp_lt_i32_e32 vcc, 5, v14
	v_cmp_eq_u32_e64 s[0:1], 3, v14
	v_lshrrev_b32_e32 v10, 2, v10
	v_and_b32_e32 v15, 7, v12
	s_or_b64 vcc, s[0:1], vcc
	v_cmp_lt_i32_e64 s[2:3], 5, v15
	v_cmp_eq_u32_e64 s[4:5], 3, v15
	v_addc_co_u32_e32 v10, vcc, 0, v10, vcc
	v_lshrrev_b32_e32 v12, 2, v12
	s_or_b64 vcc, s[4:5], s[2:3]
	v_addc_co_u32_e32 v12, vcc, 0, v12, vcc
	v_cmp_gt_i32_e32 vcc, 31, v11
	v_cndmask_b32_e32 v10, v0, v10, vcc
	v_cmp_gt_i32_e32 vcc, 31, v13
	v_lshl_or_b32 v4, v4, 9, v0
	v_cndmask_b32_e32 v12, v0, v12, vcc
	v_cmp_eq_u32_e32 vcc, s18, v11
	v_lshrrev_b32_e32 v5, 16, v5
	v_lshl_or_b32 v8, v8, 9, v0
	v_cndmask_b32_e32 v4, v10, v4, vcc
	v_cmp_eq_u32_e32 vcc, s18, v13
	v_lshrrev_b32_e32 v9, 16, v9
	v_cndmask_b32_e32 v8, v12, v8, vcc
	v_and_or_b32 v4, v5, s17, v4
	v_and_or_b32 v5, v9, s17, v8
	v_and_b32_e32 v4, 0xffff, v4
	v_lshl_or_b32 v4, v5, 16, v4
	global_store_dword v[6:7], v4, off
	global_load_dword v8, v43, s[6:7] offset:756
	ds_read2_b32 v[4:5], v43 offset0:189 offset1:252
	v_add_co_u32_e32 v6, vcc, s8, v6
	s_waitcnt lgkmcnt(0)
	v_lshrrev_b32_e32 v9, 16, v4
	s_waitcnt vmcnt(0)
	v_mul_f16_sdwa v10, v9, v8 dst_sel:DWORD dst_unused:UNUSED_PAD src0_sel:DWORD src1_sel:WORD_1
	v_fma_f16 v10, v4, v8, v10
	v_mul_f16_sdwa v4, v4, v8 dst_sel:DWORD dst_unused:UNUSED_PAD src0_sel:DWORD src1_sel:WORD_1
	v_cvt_f32_f16_e32 v10, v10
	v_fma_f16 v4, v8, v9, -v4
	v_cvt_f32_f16_e32 v4, v4
	v_cvt_f64_f32_e32 v[8:9], v10
	v_cvt_f64_f32_e32 v[10:11], v4
	v_mov_b32_e32 v4, s9
	v_mul_f64 v[8:9], v[8:9], s[14:15]
	v_addc_co_u32_e32 v7, vcc, v7, v4, vcc
	v_mul_f64 v[10:11], v[10:11], s[14:15]
	v_and_or_b32 v4, v9, s16, v8
	v_cmp_ne_u32_e32 vcc, 0, v4
	v_lshrrev_b32_e32 v8, 8, v9
	v_and_or_b32 v10, v11, s16, v10
	v_bfe_u32 v12, v9, 20, 11
	v_cndmask_b32_e64 v4, 0, 1, vcc
	v_cmp_ne_u32_e32 vcc, 0, v10
	v_lshrrev_b32_e32 v13, 8, v11
	v_bfe_u32 v14, v11, 20, 11
	v_sub_u32_e32 v15, 0x3f1, v12
	v_cndmask_b32_e64 v10, 0, 1, vcc
	v_and_or_b32 v4, v8, s10, v4
	v_sub_u32_e32 v16, 0x3f1, v14
	v_med3_i32 v8, v15, 0, 13
	v_and_or_b32 v10, v13, s10, v10
	v_or_b32_e32 v15, 0x1000, v4
	v_add_u32_e32 v12, 0xfffffc10, v12
	v_med3_i32 v13, v16, 0, 13
	v_cmp_ne_u32_e32 vcc, 0, v4
	v_or_b32_e32 v17, 0x1000, v10
	v_lshrrev_b32_e32 v19, v8, v15
	v_add_u32_e32 v14, 0xfffffc10, v14
	v_lshl_or_b32 v16, v12, 12, v4
	v_cndmask_b32_e64 v4, 0, 1, vcc
	v_cmp_ne_u32_e32 vcc, 0, v10
	v_lshrrev_b32_e32 v20, v13, v17
	v_lshlrev_b32_e32 v8, v8, v19
	v_lshl_or_b32 v18, v14, 12, v10
	v_cndmask_b32_e64 v10, 0, 1, vcc
	v_lshlrev_b32_e32 v13, v13, v20
	v_cmp_ne_u32_e32 vcc, v8, v15
	v_cndmask_b32_e64 v8, 0, 1, vcc
	v_cmp_ne_u32_e32 vcc, v13, v17
	v_cndmask_b32_e64 v13, 0, 1, vcc
	v_or_b32_e32 v8, v19, v8
	v_cmp_gt_i32_e32 vcc, 1, v12
	v_cndmask_b32_e32 v8, v16, v8, vcc
	v_or_b32_e32 v13, v20, v13
	v_cmp_gt_i32_e32 vcc, 1, v14
	v_and_b32_e32 v15, 7, v8
	v_cndmask_b32_e32 v13, v18, v13, vcc
	v_cmp_lt_i32_e32 vcc, 5, v15
	v_cmp_eq_u32_e64 s[0:1], 3, v15
	v_lshrrev_b32_e32 v8, 2, v8
	v_and_b32_e32 v16, 7, v13
	s_or_b64 vcc, s[0:1], vcc
	v_cmp_lt_i32_e64 s[2:3], 5, v16
	v_cmp_eq_u32_e64 s[4:5], 3, v16
	v_addc_co_u32_e32 v8, vcc, 0, v8, vcc
	v_lshrrev_b32_e32 v13, 2, v13
	s_or_b64 vcc, s[4:5], s[2:3]
	v_addc_co_u32_e32 v13, vcc, 0, v13, vcc
	v_cmp_gt_i32_e32 vcc, 31, v12
	v_cndmask_b32_e32 v8, v0, v8, vcc
	v_cmp_gt_i32_e32 vcc, 31, v14
	v_lshl_or_b32 v4, v4, 9, v0
	v_cndmask_b32_e32 v13, v0, v13, vcc
	v_cmp_eq_u32_e32 vcc, s18, v12
	v_lshrrev_b32_e32 v9, 16, v9
	v_lshl_or_b32 v10, v10, 9, v0
	v_cndmask_b32_e32 v4, v8, v4, vcc
	v_cmp_eq_u32_e32 vcc, s18, v14
	v_lshrrev_b32_e32 v11, 16, v11
	v_cndmask_b32_e32 v8, v13, v10, vcc
	v_and_or_b32 v4, v9, s17, v4
	v_and_or_b32 v8, v11, s17, v8
	v_and_b32_e32 v4, 0xffff, v4
	v_lshl_or_b32 v4, v8, 16, v4
	global_store_dword v[6:7], v4, off
	global_load_dword v4, v43, s[6:7] offset:1008
	v_lshrrev_b32_e32 v8, 16, v5
	v_mov_b32_e32 v10, s9
	v_add_co_u32_e32 v6, vcc, s8, v6
	v_addc_co_u32_e32 v7, vcc, v7, v10, vcc
	s_waitcnt vmcnt(0)
	v_mul_f16_sdwa v9, v8, v4 dst_sel:DWORD dst_unused:UNUSED_PAD src0_sel:DWORD src1_sel:WORD_1
	v_fma_f16 v9, v5, v4, v9
	v_mul_f16_sdwa v5, v5, v4 dst_sel:DWORD dst_unused:UNUSED_PAD src0_sel:DWORD src1_sel:WORD_1
	v_cvt_f32_f16_e32 v9, v9
	v_fma_f16 v4, v4, v8, -v5
	v_cvt_f32_f16_e32 v8, v4
	v_cvt_f64_f32_e32 v[4:5], v9
	v_cvt_f64_f32_e32 v[8:9], v8
	v_mul_f64 v[4:5], v[4:5], s[14:15]
	v_mul_f64 v[8:9], v[8:9], s[14:15]
	v_and_or_b32 v4, v5, s16, v4
	v_cmp_ne_u32_e32 vcc, 0, v4
	v_and_or_b32 v8, v9, s16, v8
	v_lshrrev_b32_e32 v10, 8, v5
	v_bfe_u32 v11, v5, 20, 11
	v_cndmask_b32_e64 v4, 0, 1, vcc
	v_cmp_ne_u32_e32 vcc, 0, v8
	v_lshrrev_b32_e32 v12, 8, v9
	v_bfe_u32 v13, v9, 20, 11
	v_sub_u32_e32 v14, 0x3f1, v11
	v_cndmask_b32_e64 v8, 0, 1, vcc
	v_and_or_b32 v4, v10, s10, v4
	v_sub_u32_e32 v15, 0x3f1, v13
	v_med3_i32 v10, v14, 0, 13
	v_and_or_b32 v8, v12, s10, v8
	v_or_b32_e32 v14, 0x1000, v4
	v_add_u32_e32 v11, 0xfffffc10, v11
	v_med3_i32 v12, v15, 0, 13
	v_cmp_ne_u32_e32 vcc, 0, v4
	v_or_b32_e32 v16, 0x1000, v8
	v_lshrrev_b32_e32 v18, v10, v14
	v_add_u32_e32 v13, 0xfffffc10, v13
	v_lshl_or_b32 v15, v11, 12, v4
	v_cndmask_b32_e64 v4, 0, 1, vcc
	v_cmp_ne_u32_e32 vcc, 0, v8
	v_lshrrev_b32_e32 v19, v12, v16
	v_lshlrev_b32_e32 v10, v10, v18
	v_lshl_or_b32 v17, v13, 12, v8
	v_cndmask_b32_e64 v8, 0, 1, vcc
	v_lshlrev_b32_e32 v12, v12, v19
	v_cmp_ne_u32_e32 vcc, v10, v14
	v_cndmask_b32_e64 v10, 0, 1, vcc
	v_cmp_ne_u32_e32 vcc, v12, v16
	v_cndmask_b32_e64 v12, 0, 1, vcc
	v_or_b32_e32 v10, v18, v10
	v_cmp_gt_i32_e32 vcc, 1, v11
	v_cndmask_b32_e32 v10, v15, v10, vcc
	v_or_b32_e32 v12, v19, v12
	v_cmp_gt_i32_e32 vcc, 1, v13
	v_and_b32_e32 v14, 7, v10
	v_cndmask_b32_e32 v12, v17, v12, vcc
	v_cmp_lt_i32_e32 vcc, 5, v14
	v_cmp_eq_u32_e64 s[0:1], 3, v14
	v_lshrrev_b32_e32 v10, 2, v10
	v_and_b32_e32 v15, 7, v12
	s_or_b64 vcc, s[0:1], vcc
	v_cmp_lt_i32_e64 s[2:3], 5, v15
	v_cmp_eq_u32_e64 s[4:5], 3, v15
	v_addc_co_u32_e32 v10, vcc, 0, v10, vcc
	v_lshrrev_b32_e32 v12, 2, v12
	s_or_b64 vcc, s[4:5], s[2:3]
	v_addc_co_u32_e32 v12, vcc, 0, v12, vcc
	v_cmp_gt_i32_e32 vcc, 31, v11
	v_cndmask_b32_e32 v10, v0, v10, vcc
	v_cmp_gt_i32_e32 vcc, 31, v13
	v_lshl_or_b32 v4, v4, 9, v0
	v_cndmask_b32_e32 v12, v0, v12, vcc
	v_cmp_eq_u32_e32 vcc, s18, v11
	v_lshrrev_b32_e32 v5, 16, v5
	v_lshl_or_b32 v8, v8, 9, v0
	v_cndmask_b32_e32 v4, v10, v4, vcc
	v_cmp_eq_u32_e32 vcc, s18, v13
	v_lshrrev_b32_e32 v9, 16, v9
	v_cndmask_b32_e32 v8, v12, v8, vcc
	v_and_or_b32 v4, v5, s17, v4
	v_and_or_b32 v5, v9, s17, v8
	v_and_b32_e32 v4, 0xffff, v4
	v_lshl_or_b32 v4, v5, 16, v4
	global_store_dword v[6:7], v4, off
	global_load_dword v8, v43, s[6:7] offset:1260
	ds_read2_b32 v[4:5], v3 offset0:59 offset1:122
	v_add_co_u32_e32 v6, vcc, s8, v6
	s_waitcnt lgkmcnt(0)
	v_lshrrev_b32_e32 v9, 16, v4
	s_waitcnt vmcnt(0)
	v_mul_f16_sdwa v10, v9, v8 dst_sel:DWORD dst_unused:UNUSED_PAD src0_sel:DWORD src1_sel:WORD_1
	v_fma_f16 v10, v4, v8, v10
	v_mul_f16_sdwa v4, v4, v8 dst_sel:DWORD dst_unused:UNUSED_PAD src0_sel:DWORD src1_sel:WORD_1
	v_cvt_f32_f16_e32 v10, v10
	v_fma_f16 v4, v8, v9, -v4
	v_cvt_f32_f16_e32 v4, v4
	v_cvt_f64_f32_e32 v[8:9], v10
	v_cvt_f64_f32_e32 v[10:11], v4
	v_mov_b32_e32 v4, s9
	v_mul_f64 v[8:9], v[8:9], s[14:15]
	v_addc_co_u32_e32 v7, vcc, v7, v4, vcc
	v_mul_f64 v[10:11], v[10:11], s[14:15]
	v_and_or_b32 v4, v9, s16, v8
	v_cmp_ne_u32_e32 vcc, 0, v4
	v_lshrrev_b32_e32 v8, 8, v9
	v_and_or_b32 v10, v11, s16, v10
	v_bfe_u32 v12, v9, 20, 11
	v_cndmask_b32_e64 v4, 0, 1, vcc
	v_cmp_ne_u32_e32 vcc, 0, v10
	v_lshrrev_b32_e32 v13, 8, v11
	v_bfe_u32 v14, v11, 20, 11
	v_sub_u32_e32 v15, 0x3f1, v12
	v_cndmask_b32_e64 v10, 0, 1, vcc
	v_and_or_b32 v4, v8, s10, v4
	v_sub_u32_e32 v16, 0x3f1, v14
	v_med3_i32 v8, v15, 0, 13
	v_and_or_b32 v10, v13, s10, v10
	v_or_b32_e32 v15, 0x1000, v4
	v_add_u32_e32 v12, 0xfffffc10, v12
	v_med3_i32 v13, v16, 0, 13
	v_cmp_ne_u32_e32 vcc, 0, v4
	v_or_b32_e32 v17, 0x1000, v10
	v_lshrrev_b32_e32 v19, v8, v15
	v_add_u32_e32 v14, 0xfffffc10, v14
	v_lshl_or_b32 v16, v12, 12, v4
	v_cndmask_b32_e64 v4, 0, 1, vcc
	v_cmp_ne_u32_e32 vcc, 0, v10
	v_lshrrev_b32_e32 v20, v13, v17
	v_lshlrev_b32_e32 v8, v8, v19
	v_lshl_or_b32 v18, v14, 12, v10
	v_cndmask_b32_e64 v10, 0, 1, vcc
	v_lshlrev_b32_e32 v13, v13, v20
	v_cmp_ne_u32_e32 vcc, v8, v15
	v_cndmask_b32_e64 v8, 0, 1, vcc
	v_cmp_ne_u32_e32 vcc, v13, v17
	v_cndmask_b32_e64 v13, 0, 1, vcc
	v_or_b32_e32 v8, v19, v8
	v_cmp_gt_i32_e32 vcc, 1, v12
	v_cndmask_b32_e32 v8, v16, v8, vcc
	v_or_b32_e32 v13, v20, v13
	v_cmp_gt_i32_e32 vcc, 1, v14
	v_and_b32_e32 v15, 7, v8
	v_cndmask_b32_e32 v13, v18, v13, vcc
	v_cmp_lt_i32_e32 vcc, 5, v15
	v_cmp_eq_u32_e64 s[0:1], 3, v15
	v_lshrrev_b32_e32 v8, 2, v8
	v_and_b32_e32 v16, 7, v13
	s_or_b64 vcc, s[0:1], vcc
	v_cmp_lt_i32_e64 s[2:3], 5, v16
	v_cmp_eq_u32_e64 s[4:5], 3, v16
	v_addc_co_u32_e32 v8, vcc, 0, v8, vcc
	v_lshrrev_b32_e32 v13, 2, v13
	s_or_b64 vcc, s[4:5], s[2:3]
	v_addc_co_u32_e32 v13, vcc, 0, v13, vcc
	v_cmp_gt_i32_e32 vcc, 31, v12
	v_cndmask_b32_e32 v8, v0, v8, vcc
	v_cmp_gt_i32_e32 vcc, 31, v14
	v_lshl_or_b32 v4, v4, 9, v0
	v_cndmask_b32_e32 v13, v0, v13, vcc
	v_cmp_eq_u32_e32 vcc, s18, v12
	v_lshrrev_b32_e32 v9, 16, v9
	v_lshl_or_b32 v10, v10, 9, v0
	v_cndmask_b32_e32 v4, v8, v4, vcc
	v_cmp_eq_u32_e32 vcc, s18, v14
	v_lshrrev_b32_e32 v11, 16, v11
	v_cndmask_b32_e32 v8, v13, v10, vcc
	v_and_or_b32 v4, v9, s17, v4
	v_and_or_b32 v8, v11, s17, v8
	v_and_b32_e32 v4, 0xffff, v4
	v_lshl_or_b32 v4, v8, 16, v4
	global_store_dword v[6:7], v4, off
	global_load_dword v4, v43, s[6:7] offset:1512
	v_lshrrev_b32_e32 v8, 16, v5
	v_mov_b32_e32 v10, s9
	v_add_co_u32_e32 v6, vcc, s8, v6
	v_addc_co_u32_e32 v7, vcc, v7, v10, vcc
	s_waitcnt vmcnt(0)
	v_mul_f16_sdwa v9, v8, v4 dst_sel:DWORD dst_unused:UNUSED_PAD src0_sel:DWORD src1_sel:WORD_1
	v_fma_f16 v9, v5, v4, v9
	v_mul_f16_sdwa v5, v5, v4 dst_sel:DWORD dst_unused:UNUSED_PAD src0_sel:DWORD src1_sel:WORD_1
	v_cvt_f32_f16_e32 v9, v9
	v_fma_f16 v4, v4, v8, -v5
	v_cvt_f32_f16_e32 v8, v4
	v_cvt_f64_f32_e32 v[4:5], v9
	v_cvt_f64_f32_e32 v[8:9], v8
	v_mul_f64 v[4:5], v[4:5], s[14:15]
	v_mul_f64 v[8:9], v[8:9], s[14:15]
	v_and_or_b32 v4, v5, s16, v4
	v_cmp_ne_u32_e32 vcc, 0, v4
	v_and_or_b32 v8, v9, s16, v8
	v_lshrrev_b32_e32 v10, 8, v5
	v_bfe_u32 v11, v5, 20, 11
	v_cndmask_b32_e64 v4, 0, 1, vcc
	v_cmp_ne_u32_e32 vcc, 0, v8
	v_lshrrev_b32_e32 v12, 8, v9
	v_bfe_u32 v13, v9, 20, 11
	v_sub_u32_e32 v14, 0x3f1, v11
	v_cndmask_b32_e64 v8, 0, 1, vcc
	v_and_or_b32 v4, v10, s10, v4
	v_sub_u32_e32 v15, 0x3f1, v13
	v_med3_i32 v10, v14, 0, 13
	v_and_or_b32 v8, v12, s10, v8
	v_or_b32_e32 v14, 0x1000, v4
	v_add_u32_e32 v11, 0xfffffc10, v11
	v_med3_i32 v12, v15, 0, 13
	v_cmp_ne_u32_e32 vcc, 0, v4
	v_or_b32_e32 v16, 0x1000, v8
	v_lshrrev_b32_e32 v18, v10, v14
	v_add_u32_e32 v13, 0xfffffc10, v13
	v_lshl_or_b32 v15, v11, 12, v4
	v_cndmask_b32_e64 v4, 0, 1, vcc
	v_cmp_ne_u32_e32 vcc, 0, v8
	v_lshrrev_b32_e32 v19, v12, v16
	v_lshlrev_b32_e32 v10, v10, v18
	v_lshl_or_b32 v17, v13, 12, v8
	v_cndmask_b32_e64 v8, 0, 1, vcc
	v_lshlrev_b32_e32 v12, v12, v19
	v_cmp_ne_u32_e32 vcc, v10, v14
	v_cndmask_b32_e64 v10, 0, 1, vcc
	v_cmp_ne_u32_e32 vcc, v12, v16
	v_cndmask_b32_e64 v12, 0, 1, vcc
	v_or_b32_e32 v10, v18, v10
	v_cmp_gt_i32_e32 vcc, 1, v11
	v_cndmask_b32_e32 v10, v15, v10, vcc
	v_or_b32_e32 v12, v19, v12
	v_cmp_gt_i32_e32 vcc, 1, v13
	v_and_b32_e32 v14, 7, v10
	v_cndmask_b32_e32 v12, v17, v12, vcc
	v_cmp_lt_i32_e32 vcc, 5, v14
	v_cmp_eq_u32_e64 s[0:1], 3, v14
	v_lshrrev_b32_e32 v10, 2, v10
	v_and_b32_e32 v15, 7, v12
	s_or_b64 vcc, s[0:1], vcc
	v_cmp_lt_i32_e64 s[2:3], 5, v15
	v_cmp_eq_u32_e64 s[4:5], 3, v15
	v_addc_co_u32_e32 v10, vcc, 0, v10, vcc
	v_lshrrev_b32_e32 v12, 2, v12
	s_or_b64 vcc, s[4:5], s[2:3]
	v_addc_co_u32_e32 v12, vcc, 0, v12, vcc
	v_cmp_gt_i32_e32 vcc, 31, v11
	v_cndmask_b32_e32 v10, v0, v10, vcc
	v_cmp_gt_i32_e32 vcc, 31, v13
	v_lshl_or_b32 v4, v4, 9, v0
	v_cndmask_b32_e32 v12, v0, v12, vcc
	v_cmp_eq_u32_e32 vcc, s18, v11
	v_lshrrev_b32_e32 v5, 16, v5
	v_lshl_or_b32 v8, v8, 9, v0
	v_cndmask_b32_e32 v4, v10, v4, vcc
	v_cmp_eq_u32_e32 vcc, s18, v13
	v_lshrrev_b32_e32 v9, 16, v9
	v_cndmask_b32_e32 v8, v12, v8, vcc
	v_and_or_b32 v4, v5, s17, v4
	v_and_or_b32 v5, v9, s17, v8
	v_and_b32_e32 v4, 0xffff, v4
	v_lshl_or_b32 v4, v5, 16, v4
	global_store_dword v[6:7], v4, off
	global_load_dword v5, v43, s[6:7] offset:1764
	ds_read2_b32 v[3:4], v3 offset0:185 offset1:248
	s_waitcnt lgkmcnt(0)
	v_lshrrev_b32_e32 v8, 16, v3
	s_waitcnt vmcnt(0)
	v_mul_f16_sdwa v9, v8, v5 dst_sel:DWORD dst_unused:UNUSED_PAD src0_sel:DWORD src1_sel:WORD_1
	v_fma_f16 v9, v3, v5, v9
	v_mul_f16_sdwa v3, v3, v5 dst_sel:DWORD dst_unused:UNUSED_PAD src0_sel:DWORD src1_sel:WORD_1
	v_cvt_f32_f16_e32 v9, v9
	v_fma_f16 v3, v5, v8, -v3
	v_cvt_f32_f16_e32 v3, v3
	v_add_co_u32_e32 v5, vcc, s8, v6
	v_cvt_f64_f32_e32 v[8:9], v9
	v_cvt_f64_f32_e32 v[10:11], v3
	v_mov_b32_e32 v3, s9
	v_addc_co_u32_e32 v6, vcc, v7, v3, vcc
	v_mul_f64 v[8:9], v[8:9], s[14:15]
	v_mul_f64 v[10:11], v[10:11], s[14:15]
	v_and_or_b32 v3, v9, s16, v8
	v_and_or_b32 v10, v11, s16, v10
	v_cmp_ne_u32_e32 vcc, 0, v3
	v_lshrrev_b32_e32 v7, 8, v9
	v_bfe_u32 v8, v9, 20, 11
	v_cndmask_b32_e64 v3, 0, 1, vcc
	v_cmp_ne_u32_e32 vcc, 0, v10
	v_lshrrev_b32_e32 v12, 8, v11
	v_bfe_u32 v13, v11, 20, 11
	v_sub_u32_e32 v14, 0x3f1, v8
	v_cndmask_b32_e64 v10, 0, 1, vcc
	v_and_or_b32 v3, v7, s10, v3
	v_sub_u32_e32 v15, 0x3f1, v13
	v_med3_i32 v7, v14, 0, 13
	v_and_or_b32 v10, v12, s10, v10
	v_or_b32_e32 v14, 0x1000, v3
	v_add_u32_e32 v8, 0xfffffc10, v8
	v_med3_i32 v12, v15, 0, 13
	v_cmp_ne_u32_e32 vcc, 0, v3
	v_or_b32_e32 v16, 0x1000, v10
	v_lshrrev_b32_e32 v18, v7, v14
	v_add_u32_e32 v13, 0xfffffc10, v13
	v_lshl_or_b32 v15, v8, 12, v3
	v_cndmask_b32_e64 v3, 0, 1, vcc
	v_cmp_ne_u32_e32 vcc, 0, v10
	v_lshrrev_b32_e32 v19, v12, v16
	v_lshlrev_b32_e32 v7, v7, v18
	v_lshl_or_b32 v17, v13, 12, v10
	v_cndmask_b32_e64 v10, 0, 1, vcc
	v_lshlrev_b32_e32 v12, v12, v19
	v_cmp_ne_u32_e32 vcc, v7, v14
	v_cndmask_b32_e64 v7, 0, 1, vcc
	v_cmp_ne_u32_e32 vcc, v12, v16
	v_cndmask_b32_e64 v12, 0, 1, vcc
	v_or_b32_e32 v7, v18, v7
	v_cmp_gt_i32_e32 vcc, 1, v8
	v_cndmask_b32_e32 v7, v15, v7, vcc
	v_or_b32_e32 v12, v19, v12
	v_cmp_gt_i32_e32 vcc, 1, v13
	v_and_b32_e32 v14, 7, v7
	v_cndmask_b32_e32 v12, v17, v12, vcc
	v_cmp_lt_i32_e32 vcc, 5, v14
	v_cmp_eq_u32_e64 s[0:1], 3, v14
	v_lshrrev_b32_e32 v7, 2, v7
	v_and_b32_e32 v15, 7, v12
	s_or_b64 vcc, s[0:1], vcc
	v_cmp_lt_i32_e64 s[2:3], 5, v15
	v_cmp_eq_u32_e64 s[4:5], 3, v15
	v_addc_co_u32_e32 v7, vcc, 0, v7, vcc
	v_lshrrev_b32_e32 v12, 2, v12
	s_or_b64 vcc, s[4:5], s[2:3]
	v_addc_co_u32_e32 v12, vcc, 0, v12, vcc
	v_cmp_gt_i32_e32 vcc, 31, v8
	v_cndmask_b32_e32 v7, v0, v7, vcc
	v_cmp_gt_i32_e32 vcc, 31, v13
	v_lshl_or_b32 v3, v3, 9, v0
	v_cndmask_b32_e32 v12, v0, v12, vcc
	v_cmp_eq_u32_e32 vcc, s18, v8
	v_lshrrev_b32_e32 v9, 16, v9
	v_lshl_or_b32 v10, v10, 9, v0
	v_cndmask_b32_e32 v3, v7, v3, vcc
	v_cmp_eq_u32_e32 vcc, s18, v13
	v_lshrrev_b32_e32 v11, 16, v11
	v_cndmask_b32_e32 v7, v12, v10, vcc
	v_and_or_b32 v3, v9, s17, v3
	v_and_or_b32 v7, v11, s17, v7
	v_and_b32_e32 v3, 0xffff, v3
	v_lshl_or_b32 v3, v7, 16, v3
	global_store_dword v[5:6], v3, off
	global_load_dword v3, v43, s[6:7] offset:2016
	v_lshrrev_b32_e32 v7, 16, v4
	v_mov_b32_e32 v9, s9
	v_add_co_u32_e32 v5, vcc, s8, v5
	v_addc_co_u32_e32 v6, vcc, v6, v9, vcc
	s_waitcnt vmcnt(0)
	v_mul_f16_sdwa v8, v7, v3 dst_sel:DWORD dst_unused:UNUSED_PAD src0_sel:DWORD src1_sel:WORD_1
	v_fma_f16 v8, v4, v3, v8
	v_mul_f16_sdwa v4, v4, v3 dst_sel:DWORD dst_unused:UNUSED_PAD src0_sel:DWORD src1_sel:WORD_1
	v_cvt_f32_f16_e32 v8, v8
	v_fma_f16 v3, v3, v7, -v4
	v_cvt_f32_f16_e32 v7, v3
	v_cvt_f64_f32_e32 v[3:4], v8
	v_cvt_f64_f32_e32 v[7:8], v7
	v_mul_f64 v[3:4], v[3:4], s[14:15]
	v_mul_f64 v[7:8], v[7:8], s[14:15]
	v_and_or_b32 v3, v4, s16, v3
	v_cmp_ne_u32_e32 vcc, 0, v3
	v_and_or_b32 v7, v8, s16, v7
	v_lshrrev_b32_e32 v9, 8, v4
	v_bfe_u32 v10, v4, 20, 11
	v_cndmask_b32_e64 v3, 0, 1, vcc
	v_cmp_ne_u32_e32 vcc, 0, v7
	v_lshrrev_b32_e32 v11, 8, v8
	v_bfe_u32 v12, v8, 20, 11
	v_sub_u32_e32 v13, 0x3f1, v10
	v_cndmask_b32_e64 v7, 0, 1, vcc
	v_and_or_b32 v3, v9, s10, v3
	v_sub_u32_e32 v14, 0x3f1, v12
	v_med3_i32 v9, v13, 0, 13
	v_and_or_b32 v7, v11, s10, v7
	v_or_b32_e32 v13, 0x1000, v3
	v_add_u32_e32 v10, 0xfffffc10, v10
	v_med3_i32 v11, v14, 0, 13
	v_cmp_ne_u32_e32 vcc, 0, v3
	v_or_b32_e32 v15, 0x1000, v7
	v_lshrrev_b32_e32 v17, v9, v13
	v_add_u32_e32 v12, 0xfffffc10, v12
	v_lshl_or_b32 v14, v10, 12, v3
	v_cndmask_b32_e64 v3, 0, 1, vcc
	v_cmp_ne_u32_e32 vcc, 0, v7
	v_lshrrev_b32_e32 v18, v11, v15
	v_lshlrev_b32_e32 v9, v9, v17
	v_lshl_or_b32 v16, v12, 12, v7
	v_cndmask_b32_e64 v7, 0, 1, vcc
	v_lshlrev_b32_e32 v11, v11, v18
	v_cmp_ne_u32_e32 vcc, v9, v13
	v_cndmask_b32_e64 v9, 0, 1, vcc
	v_cmp_ne_u32_e32 vcc, v11, v15
	v_cndmask_b32_e64 v11, 0, 1, vcc
	v_or_b32_e32 v9, v17, v9
	v_cmp_gt_i32_e32 vcc, 1, v10
	v_cndmask_b32_e32 v9, v14, v9, vcc
	v_or_b32_e32 v11, v18, v11
	v_cmp_gt_i32_e32 vcc, 1, v12
	v_and_b32_e32 v13, 7, v9
	v_cndmask_b32_e32 v11, v16, v11, vcc
	v_cmp_lt_i32_e32 vcc, 5, v13
	v_cmp_eq_u32_e64 s[0:1], 3, v13
	v_lshrrev_b32_e32 v9, 2, v9
	v_and_b32_e32 v14, 7, v11
	s_or_b64 vcc, s[0:1], vcc
	v_cmp_lt_i32_e64 s[2:3], 5, v14
	v_cmp_eq_u32_e64 s[4:5], 3, v14
	v_addc_co_u32_e32 v9, vcc, 0, v9, vcc
	v_lshrrev_b32_e32 v11, 2, v11
	s_or_b64 vcc, s[4:5], s[2:3]
	v_addc_co_u32_e32 v11, vcc, 0, v11, vcc
	v_cmp_gt_i32_e32 vcc, 31, v10
	v_cndmask_b32_e32 v9, v0, v9, vcc
	v_cmp_gt_i32_e32 vcc, 31, v12
	v_lshl_or_b32 v3, v3, 9, v0
	v_cndmask_b32_e32 v11, v0, v11, vcc
	v_cmp_eq_u32_e32 vcc, s18, v10
	v_lshrrev_b32_e32 v4, 16, v4
	v_lshl_or_b32 v7, v7, 9, v0
	v_cndmask_b32_e32 v3, v9, v3, vcc
	v_cmp_eq_u32_e32 vcc, s18, v12
	v_lshrrev_b32_e32 v8, 16, v8
	v_cndmask_b32_e32 v7, v11, v7, vcc
	v_and_or_b32 v3, v4, s17, v3
	v_and_or_b32 v4, v8, s17, v7
	v_and_b32_e32 v3, 0xffff, v3
	v_lshl_or_b32 v3, v4, 16, v3
	global_store_dword v[5:6], v3, off
	global_load_dword v7, v43, s[6:7] offset:2268
	ds_read2_b32 v[3:4], v2 offset0:55 offset1:118
	v_add_co_u32_e32 v5, vcc, s8, v5
	s_waitcnt lgkmcnt(0)
	v_lshrrev_b32_e32 v8, 16, v3
	s_waitcnt vmcnt(0)
	v_mul_f16_sdwa v9, v8, v7 dst_sel:DWORD dst_unused:UNUSED_PAD src0_sel:DWORD src1_sel:WORD_1
	v_fma_f16 v9, v3, v7, v9
	v_mul_f16_sdwa v3, v3, v7 dst_sel:DWORD dst_unused:UNUSED_PAD src0_sel:DWORD src1_sel:WORD_1
	v_cvt_f32_f16_e32 v9, v9
	v_fma_f16 v3, v7, v8, -v3
	v_cvt_f32_f16_e32 v3, v3
	v_cvt_f64_f32_e32 v[7:8], v9
	v_cvt_f64_f32_e32 v[9:10], v3
	v_mov_b32_e32 v3, s9
	v_mul_f64 v[7:8], v[7:8], s[14:15]
	v_addc_co_u32_e32 v6, vcc, v6, v3, vcc
	v_mul_f64 v[9:10], v[9:10], s[14:15]
	v_and_or_b32 v3, v8, s16, v7
	v_cmp_ne_u32_e32 vcc, 0, v3
	v_lshrrev_b32_e32 v7, 8, v8
	v_and_or_b32 v9, v10, s16, v9
	v_bfe_u32 v11, v8, 20, 11
	v_cndmask_b32_e64 v3, 0, 1, vcc
	v_cmp_ne_u32_e32 vcc, 0, v9
	v_lshrrev_b32_e32 v12, 8, v10
	v_bfe_u32 v13, v10, 20, 11
	v_sub_u32_e32 v14, 0x3f1, v11
	v_cndmask_b32_e64 v9, 0, 1, vcc
	v_and_or_b32 v3, v7, s10, v3
	v_sub_u32_e32 v15, 0x3f1, v13
	v_med3_i32 v7, v14, 0, 13
	v_and_or_b32 v9, v12, s10, v9
	v_or_b32_e32 v14, 0x1000, v3
	v_add_u32_e32 v11, 0xfffffc10, v11
	v_med3_i32 v12, v15, 0, 13
	v_cmp_ne_u32_e32 vcc, 0, v3
	v_or_b32_e32 v16, 0x1000, v9
	v_lshrrev_b32_e32 v18, v7, v14
	v_add_u32_e32 v13, 0xfffffc10, v13
	v_lshl_or_b32 v15, v11, 12, v3
	v_cndmask_b32_e64 v3, 0, 1, vcc
	v_cmp_ne_u32_e32 vcc, 0, v9
	v_lshrrev_b32_e32 v19, v12, v16
	v_lshlrev_b32_e32 v7, v7, v18
	v_lshl_or_b32 v17, v13, 12, v9
	v_cndmask_b32_e64 v9, 0, 1, vcc
	v_lshlrev_b32_e32 v12, v12, v19
	v_cmp_ne_u32_e32 vcc, v7, v14
	v_cndmask_b32_e64 v7, 0, 1, vcc
	v_cmp_ne_u32_e32 vcc, v12, v16
	v_cndmask_b32_e64 v12, 0, 1, vcc
	v_or_b32_e32 v7, v18, v7
	v_cmp_gt_i32_e32 vcc, 1, v11
	v_cndmask_b32_e32 v7, v15, v7, vcc
	v_or_b32_e32 v12, v19, v12
	v_cmp_gt_i32_e32 vcc, 1, v13
	v_and_b32_e32 v14, 7, v7
	v_cndmask_b32_e32 v12, v17, v12, vcc
	v_cmp_lt_i32_e32 vcc, 5, v14
	v_cmp_eq_u32_e64 s[0:1], 3, v14
	v_lshrrev_b32_e32 v7, 2, v7
	v_and_b32_e32 v15, 7, v12
	s_or_b64 vcc, s[0:1], vcc
	v_cmp_lt_i32_e64 s[2:3], 5, v15
	v_cmp_eq_u32_e64 s[4:5], 3, v15
	v_addc_co_u32_e32 v7, vcc, 0, v7, vcc
	v_lshrrev_b32_e32 v12, 2, v12
	s_or_b64 vcc, s[4:5], s[2:3]
	v_addc_co_u32_e32 v12, vcc, 0, v12, vcc
	v_cmp_gt_i32_e32 vcc, 31, v11
	v_cndmask_b32_e32 v7, v0, v7, vcc
	v_cmp_gt_i32_e32 vcc, 31, v13
	v_lshl_or_b32 v3, v3, 9, v0
	v_cndmask_b32_e32 v12, v0, v12, vcc
	v_cmp_eq_u32_e32 vcc, s18, v11
	v_lshrrev_b32_e32 v8, 16, v8
	v_lshl_or_b32 v9, v9, 9, v0
	v_cndmask_b32_e32 v3, v7, v3, vcc
	v_cmp_eq_u32_e32 vcc, s18, v13
	v_lshrrev_b32_e32 v10, 16, v10
	v_cndmask_b32_e32 v7, v12, v9, vcc
	v_and_or_b32 v3, v8, s17, v3
	v_and_or_b32 v7, v10, s17, v7
	v_and_b32_e32 v3, 0xffff, v3
	v_lshl_or_b32 v3, v7, 16, v3
	global_store_dword v[5:6], v3, off
	global_load_dword v3, v43, s[6:7] offset:2520
	v_lshrrev_b32_e32 v7, 16, v4
	v_mov_b32_e32 v9, s9
	v_add_co_u32_e32 v5, vcc, s8, v5
	v_addc_co_u32_e32 v6, vcc, v6, v9, vcc
	s_waitcnt vmcnt(0)
	v_mul_f16_sdwa v8, v7, v3 dst_sel:DWORD dst_unused:UNUSED_PAD src0_sel:DWORD src1_sel:WORD_1
	v_fma_f16 v8, v4, v3, v8
	v_mul_f16_sdwa v4, v4, v3 dst_sel:DWORD dst_unused:UNUSED_PAD src0_sel:DWORD src1_sel:WORD_1
	v_cvt_f32_f16_e32 v8, v8
	v_fma_f16 v3, v3, v7, -v4
	v_cvt_f32_f16_e32 v7, v3
	v_cvt_f64_f32_e32 v[3:4], v8
	v_cvt_f64_f32_e32 v[7:8], v7
	v_mul_f64 v[3:4], v[3:4], s[14:15]
	v_mul_f64 v[7:8], v[7:8], s[14:15]
	v_and_or_b32 v3, v4, s16, v3
	v_cmp_ne_u32_e32 vcc, 0, v3
	v_and_or_b32 v7, v8, s16, v7
	v_lshrrev_b32_e32 v9, 8, v4
	v_bfe_u32 v10, v4, 20, 11
	v_cndmask_b32_e64 v3, 0, 1, vcc
	v_cmp_ne_u32_e32 vcc, 0, v7
	v_lshrrev_b32_e32 v11, 8, v8
	v_bfe_u32 v12, v8, 20, 11
	v_sub_u32_e32 v13, 0x3f1, v10
	v_cndmask_b32_e64 v7, 0, 1, vcc
	v_and_or_b32 v3, v9, s10, v3
	v_sub_u32_e32 v14, 0x3f1, v12
	v_med3_i32 v9, v13, 0, 13
	v_and_or_b32 v7, v11, s10, v7
	v_or_b32_e32 v13, 0x1000, v3
	v_add_u32_e32 v10, 0xfffffc10, v10
	v_med3_i32 v11, v14, 0, 13
	v_cmp_ne_u32_e32 vcc, 0, v3
	v_or_b32_e32 v15, 0x1000, v7
	v_lshrrev_b32_e32 v17, v9, v13
	v_add_u32_e32 v12, 0xfffffc10, v12
	v_lshl_or_b32 v14, v10, 12, v3
	v_cndmask_b32_e64 v3, 0, 1, vcc
	v_cmp_ne_u32_e32 vcc, 0, v7
	v_lshrrev_b32_e32 v18, v11, v15
	v_lshlrev_b32_e32 v9, v9, v17
	v_lshl_or_b32 v16, v12, 12, v7
	v_cndmask_b32_e64 v7, 0, 1, vcc
	v_lshlrev_b32_e32 v11, v11, v18
	v_cmp_ne_u32_e32 vcc, v9, v13
	v_cndmask_b32_e64 v9, 0, 1, vcc
	v_cmp_ne_u32_e32 vcc, v11, v15
	v_cndmask_b32_e64 v11, 0, 1, vcc
	v_or_b32_e32 v9, v17, v9
	v_cmp_gt_i32_e32 vcc, 1, v10
	v_cndmask_b32_e32 v9, v14, v9, vcc
	v_or_b32_e32 v11, v18, v11
	v_cmp_gt_i32_e32 vcc, 1, v12
	v_and_b32_e32 v13, 7, v9
	v_cndmask_b32_e32 v11, v16, v11, vcc
	v_cmp_lt_i32_e32 vcc, 5, v13
	v_cmp_eq_u32_e64 s[0:1], 3, v13
	v_lshrrev_b32_e32 v9, 2, v9
	v_and_b32_e32 v14, 7, v11
	s_or_b64 vcc, s[0:1], vcc
	v_cmp_lt_i32_e64 s[2:3], 5, v14
	v_cmp_eq_u32_e64 s[4:5], 3, v14
	v_addc_co_u32_e32 v9, vcc, 0, v9, vcc
	v_lshrrev_b32_e32 v11, 2, v11
	s_or_b64 vcc, s[4:5], s[2:3]
	v_addc_co_u32_e32 v11, vcc, 0, v11, vcc
	v_cmp_gt_i32_e32 vcc, 31, v10
	v_cndmask_b32_e32 v9, v0, v9, vcc
	v_cmp_gt_i32_e32 vcc, 31, v12
	v_lshl_or_b32 v3, v3, 9, v0
	v_cndmask_b32_e32 v11, v0, v11, vcc
	v_cmp_eq_u32_e32 vcc, s18, v10
	v_lshrrev_b32_e32 v4, 16, v4
	v_lshl_or_b32 v7, v7, 9, v0
	v_cndmask_b32_e32 v3, v9, v3, vcc
	v_cmp_eq_u32_e32 vcc, s18, v12
	v_lshrrev_b32_e32 v8, 16, v8
	v_cndmask_b32_e32 v7, v11, v7, vcc
	v_and_or_b32 v3, v4, s17, v3
	v_and_or_b32 v4, v8, s17, v7
	v_and_b32_e32 v3, 0xffff, v3
	v_lshl_or_b32 v3, v4, 16, v3
	global_store_dword v[5:6], v3, off
	global_load_dword v4, v43, s[6:7] offset:2772
	ds_read2_b32 v[2:3], v2 offset0:181 offset1:244
	s_waitcnt lgkmcnt(0)
	v_lshrrev_b32_e32 v7, 16, v2
	s_waitcnt vmcnt(0)
	v_mul_f16_sdwa v8, v7, v4 dst_sel:DWORD dst_unused:UNUSED_PAD src0_sel:DWORD src1_sel:WORD_1
	v_fma_f16 v8, v2, v4, v8
	v_mul_f16_sdwa v2, v2, v4 dst_sel:DWORD dst_unused:UNUSED_PAD src0_sel:DWORD src1_sel:WORD_1
	v_cvt_f32_f16_e32 v8, v8
	v_fma_f16 v2, v4, v7, -v2
	v_cvt_f32_f16_e32 v2, v2
	v_add_co_u32_e32 v4, vcc, s8, v5
	v_cvt_f64_f32_e32 v[7:8], v8
	v_cvt_f64_f32_e32 v[9:10], v2
	v_mov_b32_e32 v2, s9
	v_addc_co_u32_e32 v5, vcc, v6, v2, vcc
	v_mul_f64 v[7:8], v[7:8], s[14:15]
	v_mul_f64 v[9:10], v[9:10], s[14:15]
	v_and_or_b32 v2, v8, s16, v7
	v_and_or_b32 v9, v10, s16, v9
	v_cmp_ne_u32_e32 vcc, 0, v2
	v_lshrrev_b32_e32 v6, 8, v8
	v_bfe_u32 v7, v8, 20, 11
	v_cndmask_b32_e64 v2, 0, 1, vcc
	v_cmp_ne_u32_e32 vcc, 0, v9
	v_lshrrev_b32_e32 v11, 8, v10
	v_bfe_u32 v12, v10, 20, 11
	v_sub_u32_e32 v13, 0x3f1, v7
	v_cndmask_b32_e64 v9, 0, 1, vcc
	v_and_or_b32 v2, v6, s10, v2
	v_sub_u32_e32 v14, 0x3f1, v12
	v_med3_i32 v6, v13, 0, 13
	v_and_or_b32 v9, v11, s10, v9
	v_or_b32_e32 v13, 0x1000, v2
	v_add_u32_e32 v7, 0xfffffc10, v7
	v_med3_i32 v11, v14, 0, 13
	v_cmp_ne_u32_e32 vcc, 0, v2
	v_or_b32_e32 v15, 0x1000, v9
	v_lshrrev_b32_e32 v17, v6, v13
	v_add_u32_e32 v12, 0xfffffc10, v12
	v_lshl_or_b32 v14, v7, 12, v2
	v_cndmask_b32_e64 v2, 0, 1, vcc
	v_cmp_ne_u32_e32 vcc, 0, v9
	v_lshrrev_b32_e32 v18, v11, v15
	v_lshlrev_b32_e32 v6, v6, v17
	v_lshl_or_b32 v16, v12, 12, v9
	v_cndmask_b32_e64 v9, 0, 1, vcc
	v_lshlrev_b32_e32 v11, v11, v18
	v_cmp_ne_u32_e32 vcc, v6, v13
	v_cndmask_b32_e64 v6, 0, 1, vcc
	v_cmp_ne_u32_e32 vcc, v11, v15
	v_cndmask_b32_e64 v11, 0, 1, vcc
	v_or_b32_e32 v6, v17, v6
	v_cmp_gt_i32_e32 vcc, 1, v7
	v_cndmask_b32_e32 v6, v14, v6, vcc
	v_or_b32_e32 v11, v18, v11
	v_cmp_gt_i32_e32 vcc, 1, v12
	v_and_b32_e32 v13, 7, v6
	v_cndmask_b32_e32 v11, v16, v11, vcc
	v_cmp_lt_i32_e32 vcc, 5, v13
	v_cmp_eq_u32_e64 s[0:1], 3, v13
	v_lshrrev_b32_e32 v6, 2, v6
	v_and_b32_e32 v14, 7, v11
	s_or_b64 vcc, s[0:1], vcc
	v_cmp_lt_i32_e64 s[2:3], 5, v14
	v_cmp_eq_u32_e64 s[4:5], 3, v14
	v_addc_co_u32_e32 v6, vcc, 0, v6, vcc
	v_lshrrev_b32_e32 v11, 2, v11
	s_or_b64 vcc, s[4:5], s[2:3]
	v_addc_co_u32_e32 v11, vcc, 0, v11, vcc
	v_cmp_gt_i32_e32 vcc, 31, v7
	v_cndmask_b32_e32 v6, v0, v6, vcc
	v_cmp_gt_i32_e32 vcc, 31, v12
	v_lshl_or_b32 v2, v2, 9, v0
	v_cndmask_b32_e32 v11, v0, v11, vcc
	v_cmp_eq_u32_e32 vcc, s18, v7
	v_lshrrev_b32_e32 v8, 16, v8
	v_lshl_or_b32 v9, v9, 9, v0
	v_cndmask_b32_e32 v2, v6, v2, vcc
	v_cmp_eq_u32_e32 vcc, s18, v12
	v_lshrrev_b32_e32 v10, 16, v10
	v_cndmask_b32_e32 v6, v11, v9, vcc
	v_and_or_b32 v2, v8, s17, v2
	v_and_or_b32 v6, v10, s17, v6
	v_and_b32_e32 v2, 0xffff, v2
	v_lshl_or_b32 v2, v6, 16, v2
	global_store_dword v[4:5], v2, off
	global_load_dword v2, v43, s[6:7] offset:3024
	v_lshrrev_b32_e32 v6, 16, v3
	v_mov_b32_e32 v8, s9
	v_add_co_u32_e32 v4, vcc, s8, v4
	v_addc_co_u32_e32 v5, vcc, v5, v8, vcc
	s_waitcnt vmcnt(0)
	v_mul_f16_sdwa v7, v6, v2 dst_sel:DWORD dst_unused:UNUSED_PAD src0_sel:DWORD src1_sel:WORD_1
	v_fma_f16 v7, v3, v2, v7
	v_mul_f16_sdwa v3, v3, v2 dst_sel:DWORD dst_unused:UNUSED_PAD src0_sel:DWORD src1_sel:WORD_1
	v_cvt_f32_f16_e32 v7, v7
	v_fma_f16 v2, v2, v6, -v3
	v_cvt_f32_f16_e32 v6, v2
	v_cvt_f64_f32_e32 v[2:3], v7
	v_cvt_f64_f32_e32 v[6:7], v6
	v_mul_f64 v[2:3], v[2:3], s[14:15]
	v_mul_f64 v[6:7], v[6:7], s[14:15]
	v_and_or_b32 v2, v3, s16, v2
	v_cmp_ne_u32_e32 vcc, 0, v2
	v_and_or_b32 v6, v7, s16, v6
	v_lshrrev_b32_e32 v8, 8, v3
	v_bfe_u32 v9, v3, 20, 11
	v_cndmask_b32_e64 v2, 0, 1, vcc
	v_cmp_ne_u32_e32 vcc, 0, v6
	v_lshrrev_b32_e32 v10, 8, v7
	v_bfe_u32 v11, v7, 20, 11
	v_sub_u32_e32 v12, 0x3f1, v9
	v_cndmask_b32_e64 v6, 0, 1, vcc
	v_and_or_b32 v2, v8, s10, v2
	v_sub_u32_e32 v13, 0x3f1, v11
	v_med3_i32 v8, v12, 0, 13
	v_and_or_b32 v6, v10, s10, v6
	v_or_b32_e32 v12, 0x1000, v2
	v_add_u32_e32 v9, 0xfffffc10, v9
	v_med3_i32 v10, v13, 0, 13
	v_cmp_ne_u32_e32 vcc, 0, v2
	v_or_b32_e32 v14, 0x1000, v6
	v_lshrrev_b32_e32 v16, v8, v12
	v_add_u32_e32 v11, 0xfffffc10, v11
	v_lshl_or_b32 v13, v9, 12, v2
	v_cndmask_b32_e64 v2, 0, 1, vcc
	v_cmp_ne_u32_e32 vcc, 0, v6
	v_lshrrev_b32_e32 v17, v10, v14
	v_lshlrev_b32_e32 v8, v8, v16
	v_lshl_or_b32 v15, v11, 12, v6
	v_cndmask_b32_e64 v6, 0, 1, vcc
	v_lshlrev_b32_e32 v10, v10, v17
	v_cmp_ne_u32_e32 vcc, v8, v12
	v_cndmask_b32_e64 v8, 0, 1, vcc
	v_cmp_ne_u32_e32 vcc, v10, v14
	v_cndmask_b32_e64 v10, 0, 1, vcc
	v_or_b32_e32 v8, v16, v8
	v_cmp_gt_i32_e32 vcc, 1, v9
	v_cndmask_b32_e32 v8, v13, v8, vcc
	v_or_b32_e32 v10, v17, v10
	v_cmp_gt_i32_e32 vcc, 1, v11
	v_and_b32_e32 v12, 7, v8
	v_cndmask_b32_e32 v10, v15, v10, vcc
	v_cmp_lt_i32_e32 vcc, 5, v12
	v_cmp_eq_u32_e64 s[0:1], 3, v12
	v_lshrrev_b32_e32 v8, 2, v8
	v_and_b32_e32 v13, 7, v10
	s_or_b64 vcc, s[0:1], vcc
	v_cmp_lt_i32_e64 s[2:3], 5, v13
	v_cmp_eq_u32_e64 s[4:5], 3, v13
	v_addc_co_u32_e32 v8, vcc, 0, v8, vcc
	v_lshrrev_b32_e32 v10, 2, v10
	s_or_b64 vcc, s[4:5], s[2:3]
	v_addc_co_u32_e32 v10, vcc, 0, v10, vcc
	v_cmp_gt_i32_e32 vcc, 31, v9
	v_cndmask_b32_e32 v8, v0, v8, vcc
	v_cmp_gt_i32_e32 vcc, 31, v11
	v_lshl_or_b32 v2, v2, 9, v0
	v_cndmask_b32_e32 v10, v0, v10, vcc
	v_cmp_eq_u32_e32 vcc, s18, v9
	v_lshrrev_b32_e32 v3, 16, v3
	v_lshl_or_b32 v6, v6, 9, v0
	v_cndmask_b32_e32 v2, v8, v2, vcc
	v_cmp_eq_u32_e32 vcc, s18, v11
	v_lshrrev_b32_e32 v7, 16, v7
	v_cndmask_b32_e32 v6, v10, v6, vcc
	v_and_or_b32 v2, v3, s17, v2
	v_and_or_b32 v3, v7, s17, v6
	v_and_b32_e32 v2, 0xffff, v2
	v_lshl_or_b32 v2, v3, 16, v2
	global_store_dword v[4:5], v2, off
	global_load_dword v6, v43, s[6:7] offset:3276
	ds_read2_b32 v[2:3], v1 offset0:51 offset1:114
	v_add_co_u32_e32 v4, vcc, s8, v4
	s_waitcnt lgkmcnt(0)
	v_lshrrev_b32_e32 v7, 16, v2
	s_waitcnt vmcnt(0)
	v_mul_f16_sdwa v8, v7, v6 dst_sel:DWORD dst_unused:UNUSED_PAD src0_sel:DWORD src1_sel:WORD_1
	v_fma_f16 v8, v2, v6, v8
	v_mul_f16_sdwa v2, v2, v6 dst_sel:DWORD dst_unused:UNUSED_PAD src0_sel:DWORD src1_sel:WORD_1
	v_cvt_f32_f16_e32 v8, v8
	v_fma_f16 v2, v6, v7, -v2
	v_cvt_f32_f16_e32 v2, v2
	v_cvt_f64_f32_e32 v[6:7], v8
	v_cvt_f64_f32_e32 v[8:9], v2
	v_mov_b32_e32 v2, s9
	v_mul_f64 v[6:7], v[6:7], s[14:15]
	v_addc_co_u32_e32 v5, vcc, v5, v2, vcc
	v_mul_f64 v[8:9], v[8:9], s[14:15]
	v_and_or_b32 v2, v7, s16, v6
	v_cmp_ne_u32_e32 vcc, 0, v2
	v_lshrrev_b32_e32 v6, 8, v7
	v_and_or_b32 v8, v9, s16, v8
	v_bfe_u32 v10, v7, 20, 11
	v_cndmask_b32_e64 v2, 0, 1, vcc
	v_cmp_ne_u32_e32 vcc, 0, v8
	v_lshrrev_b32_e32 v11, 8, v9
	v_bfe_u32 v12, v9, 20, 11
	v_sub_u32_e32 v13, 0x3f1, v10
	v_cndmask_b32_e64 v8, 0, 1, vcc
	v_and_or_b32 v2, v6, s10, v2
	v_sub_u32_e32 v14, 0x3f1, v12
	v_med3_i32 v6, v13, 0, 13
	v_and_or_b32 v8, v11, s10, v8
	v_or_b32_e32 v13, 0x1000, v2
	v_add_u32_e32 v10, 0xfffffc10, v10
	v_med3_i32 v11, v14, 0, 13
	v_cmp_ne_u32_e32 vcc, 0, v2
	v_or_b32_e32 v15, 0x1000, v8
	v_lshrrev_b32_e32 v17, v6, v13
	v_add_u32_e32 v12, 0xfffffc10, v12
	v_lshl_or_b32 v14, v10, 12, v2
	v_cndmask_b32_e64 v2, 0, 1, vcc
	v_cmp_ne_u32_e32 vcc, 0, v8
	v_lshrrev_b32_e32 v18, v11, v15
	v_lshlrev_b32_e32 v6, v6, v17
	v_lshl_or_b32 v16, v12, 12, v8
	v_cndmask_b32_e64 v8, 0, 1, vcc
	v_lshlrev_b32_e32 v11, v11, v18
	v_cmp_ne_u32_e32 vcc, v6, v13
	v_cndmask_b32_e64 v6, 0, 1, vcc
	v_cmp_ne_u32_e32 vcc, v11, v15
	v_cndmask_b32_e64 v11, 0, 1, vcc
	v_or_b32_e32 v6, v17, v6
	v_cmp_gt_i32_e32 vcc, 1, v10
	v_cndmask_b32_e32 v6, v14, v6, vcc
	v_or_b32_e32 v11, v18, v11
	v_cmp_gt_i32_e32 vcc, 1, v12
	v_and_b32_e32 v13, 7, v6
	v_cndmask_b32_e32 v11, v16, v11, vcc
	v_cmp_lt_i32_e32 vcc, 5, v13
	v_cmp_eq_u32_e64 s[0:1], 3, v13
	v_lshrrev_b32_e32 v6, 2, v6
	v_and_b32_e32 v14, 7, v11
	s_or_b64 vcc, s[0:1], vcc
	v_cmp_lt_i32_e64 s[2:3], 5, v14
	v_cmp_eq_u32_e64 s[4:5], 3, v14
	v_addc_co_u32_e32 v6, vcc, 0, v6, vcc
	v_lshrrev_b32_e32 v11, 2, v11
	s_or_b64 vcc, s[4:5], s[2:3]
	v_addc_co_u32_e32 v11, vcc, 0, v11, vcc
	v_cmp_gt_i32_e32 vcc, 31, v10
	v_cndmask_b32_e32 v6, v0, v6, vcc
	v_cmp_gt_i32_e32 vcc, 31, v12
	v_lshl_or_b32 v2, v2, 9, v0
	v_cndmask_b32_e32 v11, v0, v11, vcc
	v_cmp_eq_u32_e32 vcc, s18, v10
	v_lshrrev_b32_e32 v7, 16, v7
	v_lshl_or_b32 v8, v8, 9, v0
	v_cndmask_b32_e32 v2, v6, v2, vcc
	v_cmp_eq_u32_e32 vcc, s18, v12
	v_lshrrev_b32_e32 v9, 16, v9
	v_cndmask_b32_e32 v6, v11, v8, vcc
	v_and_or_b32 v2, v7, s17, v2
	v_and_or_b32 v6, v9, s17, v6
	v_and_b32_e32 v2, 0xffff, v2
	v_lshl_or_b32 v2, v6, 16, v2
	global_store_dword v[4:5], v2, off
	global_load_dword v2, v43, s[6:7] offset:3528
	v_lshrrev_b32_e32 v6, 16, v3
	v_mov_b32_e32 v8, s9
	v_add_co_u32_e32 v4, vcc, s8, v4
	v_addc_co_u32_e32 v5, vcc, v5, v8, vcc
	s_waitcnt vmcnt(0)
	v_mul_f16_sdwa v7, v6, v2 dst_sel:DWORD dst_unused:UNUSED_PAD src0_sel:DWORD src1_sel:WORD_1
	v_fma_f16 v7, v3, v2, v7
	v_mul_f16_sdwa v3, v3, v2 dst_sel:DWORD dst_unused:UNUSED_PAD src0_sel:DWORD src1_sel:WORD_1
	v_cvt_f32_f16_e32 v7, v7
	v_fma_f16 v2, v2, v6, -v3
	v_cvt_f32_f16_e32 v6, v2
	v_cvt_f64_f32_e32 v[2:3], v7
	v_cvt_f64_f32_e32 v[6:7], v6
	v_mul_f64 v[2:3], v[2:3], s[14:15]
	v_mul_f64 v[6:7], v[6:7], s[14:15]
	v_and_or_b32 v2, v3, s16, v2
	v_cmp_ne_u32_e32 vcc, 0, v2
	v_and_or_b32 v6, v7, s16, v6
	v_lshrrev_b32_e32 v8, 8, v3
	v_bfe_u32 v9, v3, 20, 11
	v_cndmask_b32_e64 v2, 0, 1, vcc
	v_cmp_ne_u32_e32 vcc, 0, v6
	v_lshrrev_b32_e32 v10, 8, v7
	v_bfe_u32 v11, v7, 20, 11
	v_sub_u32_e32 v12, 0x3f1, v9
	v_cndmask_b32_e64 v6, 0, 1, vcc
	v_and_or_b32 v2, v8, s10, v2
	v_sub_u32_e32 v13, 0x3f1, v11
	v_med3_i32 v8, v12, 0, 13
	v_and_or_b32 v6, v10, s10, v6
	v_or_b32_e32 v12, 0x1000, v2
	v_add_u32_e32 v9, 0xfffffc10, v9
	v_med3_i32 v10, v13, 0, 13
	v_cmp_ne_u32_e32 vcc, 0, v2
	v_or_b32_e32 v14, 0x1000, v6
	v_lshrrev_b32_e32 v16, v8, v12
	v_add_u32_e32 v11, 0xfffffc10, v11
	v_lshl_or_b32 v13, v9, 12, v2
	v_cndmask_b32_e64 v2, 0, 1, vcc
	v_cmp_ne_u32_e32 vcc, 0, v6
	v_lshrrev_b32_e32 v17, v10, v14
	v_lshlrev_b32_e32 v8, v8, v16
	v_lshl_or_b32 v15, v11, 12, v6
	v_cndmask_b32_e64 v6, 0, 1, vcc
	v_lshlrev_b32_e32 v10, v10, v17
	v_cmp_ne_u32_e32 vcc, v8, v12
	v_cndmask_b32_e64 v8, 0, 1, vcc
	v_cmp_ne_u32_e32 vcc, v10, v14
	v_cndmask_b32_e64 v10, 0, 1, vcc
	v_or_b32_e32 v8, v16, v8
	v_cmp_gt_i32_e32 vcc, 1, v9
	v_cndmask_b32_e32 v8, v13, v8, vcc
	v_or_b32_e32 v10, v17, v10
	v_cmp_gt_i32_e32 vcc, 1, v11
	v_and_b32_e32 v12, 7, v8
	v_cndmask_b32_e32 v10, v15, v10, vcc
	v_cmp_lt_i32_e32 vcc, 5, v12
	v_cmp_eq_u32_e64 s[0:1], 3, v12
	v_lshrrev_b32_e32 v8, 2, v8
	v_and_b32_e32 v13, 7, v10
	s_or_b64 vcc, s[0:1], vcc
	v_cmp_lt_i32_e64 s[2:3], 5, v13
	v_cmp_eq_u32_e64 s[4:5], 3, v13
	v_addc_co_u32_e32 v8, vcc, 0, v8, vcc
	v_lshrrev_b32_e32 v10, 2, v10
	s_or_b64 vcc, s[4:5], s[2:3]
	v_addc_co_u32_e32 v10, vcc, 0, v10, vcc
	v_cmp_gt_i32_e32 vcc, 31, v9
	v_cndmask_b32_e32 v8, v0, v8, vcc
	v_cmp_gt_i32_e32 vcc, 31, v11
	v_lshl_or_b32 v2, v2, 9, v0
	v_cndmask_b32_e32 v10, v0, v10, vcc
	v_cmp_eq_u32_e32 vcc, s18, v9
	v_lshrrev_b32_e32 v3, 16, v3
	v_lshl_or_b32 v6, v6, 9, v0
	v_cndmask_b32_e32 v2, v8, v2, vcc
	v_cmp_eq_u32_e32 vcc, s18, v11
	v_lshrrev_b32_e32 v7, 16, v7
	v_cndmask_b32_e32 v6, v10, v6, vcc
	v_and_or_b32 v2, v3, s17, v2
	v_and_or_b32 v3, v7, s17, v6
	v_and_b32_e32 v2, 0xffff, v2
	v_lshl_or_b32 v2, v3, 16, v2
	global_store_dword v[4:5], v2, off
	global_load_dword v3, v43, s[6:7] offset:3780
	ds_read2_b32 v[1:2], v1 offset0:177 offset1:240
	s_waitcnt lgkmcnt(0)
	v_lshrrev_b32_e32 v6, 16, v1
	s_waitcnt vmcnt(0)
	v_mul_f16_sdwa v7, v6, v3 dst_sel:DWORD dst_unused:UNUSED_PAD src0_sel:DWORD src1_sel:WORD_1
	v_fma_f16 v7, v1, v3, v7
	v_mul_f16_sdwa v1, v1, v3 dst_sel:DWORD dst_unused:UNUSED_PAD src0_sel:DWORD src1_sel:WORD_1
	v_cvt_f32_f16_e32 v7, v7
	v_fma_f16 v1, v3, v6, -v1
	v_cvt_f32_f16_e32 v1, v1
	v_add_co_u32_e32 v3, vcc, s8, v4
	v_cvt_f64_f32_e32 v[6:7], v7
	v_cvt_f64_f32_e32 v[8:9], v1
	v_mov_b32_e32 v1, s9
	v_addc_co_u32_e32 v4, vcc, v5, v1, vcc
	v_mul_f64 v[6:7], v[6:7], s[14:15]
	v_mul_f64 v[8:9], v[8:9], s[14:15]
	v_and_or_b32 v1, v7, s16, v6
	v_and_or_b32 v8, v9, s16, v8
	v_cmp_ne_u32_e32 vcc, 0, v1
	v_lshrrev_b32_e32 v5, 8, v7
	v_bfe_u32 v6, v7, 20, 11
	v_cndmask_b32_e64 v1, 0, 1, vcc
	v_cmp_ne_u32_e32 vcc, 0, v8
	v_lshrrev_b32_e32 v10, 8, v9
	v_bfe_u32 v11, v9, 20, 11
	v_sub_u32_e32 v12, 0x3f1, v6
	v_cndmask_b32_e64 v8, 0, 1, vcc
	v_and_or_b32 v1, v5, s10, v1
	v_sub_u32_e32 v13, 0x3f1, v11
	v_med3_i32 v5, v12, 0, 13
	v_and_or_b32 v8, v10, s10, v8
	v_or_b32_e32 v12, 0x1000, v1
	v_add_u32_e32 v6, 0xfffffc10, v6
	v_med3_i32 v10, v13, 0, 13
	v_cmp_ne_u32_e32 vcc, 0, v1
	v_or_b32_e32 v14, 0x1000, v8
	v_lshrrev_b32_e32 v16, v5, v12
	v_add_u32_e32 v11, 0xfffffc10, v11
	v_lshl_or_b32 v13, v6, 12, v1
	v_cndmask_b32_e64 v1, 0, 1, vcc
	v_cmp_ne_u32_e32 vcc, 0, v8
	v_lshrrev_b32_e32 v17, v10, v14
	v_lshlrev_b32_e32 v5, v5, v16
	v_lshl_or_b32 v15, v11, 12, v8
	v_cndmask_b32_e64 v8, 0, 1, vcc
	v_lshlrev_b32_e32 v10, v10, v17
	v_cmp_ne_u32_e32 vcc, v5, v12
	v_cndmask_b32_e64 v5, 0, 1, vcc
	v_cmp_ne_u32_e32 vcc, v10, v14
	v_cndmask_b32_e64 v10, 0, 1, vcc
	v_or_b32_e32 v5, v16, v5
	v_cmp_gt_i32_e32 vcc, 1, v6
	v_cndmask_b32_e32 v5, v13, v5, vcc
	v_or_b32_e32 v10, v17, v10
	v_cmp_gt_i32_e32 vcc, 1, v11
	v_and_b32_e32 v12, 7, v5
	v_cndmask_b32_e32 v10, v15, v10, vcc
	v_cmp_lt_i32_e32 vcc, 5, v12
	v_cmp_eq_u32_e64 s[0:1], 3, v12
	v_lshrrev_b32_e32 v5, 2, v5
	v_and_b32_e32 v13, 7, v10
	s_or_b64 vcc, s[0:1], vcc
	v_cmp_lt_i32_e64 s[2:3], 5, v13
	v_cmp_eq_u32_e64 s[4:5], 3, v13
	v_addc_co_u32_e32 v5, vcc, 0, v5, vcc
	v_lshrrev_b32_e32 v10, 2, v10
	s_or_b64 vcc, s[4:5], s[2:3]
	v_addc_co_u32_e32 v10, vcc, 0, v10, vcc
	v_cmp_gt_i32_e32 vcc, 31, v6
	v_cndmask_b32_e32 v5, v0, v5, vcc
	v_cmp_gt_i32_e32 vcc, 31, v11
	v_lshl_or_b32 v1, v1, 9, v0
	v_cndmask_b32_e32 v10, v0, v10, vcc
	v_cmp_eq_u32_e32 vcc, s18, v6
	v_lshrrev_b32_e32 v7, 16, v7
	v_lshl_or_b32 v8, v8, 9, v0
	v_cndmask_b32_e32 v1, v5, v1, vcc
	v_cmp_eq_u32_e32 vcc, s18, v11
	v_lshrrev_b32_e32 v9, 16, v9
	v_cndmask_b32_e32 v5, v10, v8, vcc
	v_and_or_b32 v1, v7, s17, v1
	v_and_or_b32 v5, v9, s17, v5
	v_and_b32_e32 v1, 0xffff, v1
	v_lshl_or_b32 v1, v5, 16, v1
	global_store_dword v[3:4], v1, off
	global_load_dword v1, v43, s[6:7] offset:4032
	v_lshrrev_b32_e32 v5, 16, v2
	v_mov_b32_e32 v7, s9
	s_waitcnt vmcnt(0)
	v_mul_f16_sdwa v6, v5, v1 dst_sel:DWORD dst_unused:UNUSED_PAD src0_sel:DWORD src1_sel:WORD_1
	v_fma_f16 v6, v2, v1, v6
	v_mul_f16_sdwa v2, v2, v1 dst_sel:DWORD dst_unused:UNUSED_PAD src0_sel:DWORD src1_sel:WORD_1
	v_cvt_f32_f16_e32 v6, v6
	v_fma_f16 v1, v1, v5, -v2
	v_cvt_f32_f16_e32 v5, v1
	v_cvt_f64_f32_e32 v[1:2], v6
	v_cvt_f64_f32_e32 v[5:6], v5
	v_mul_f64 v[1:2], v[1:2], s[14:15]
	v_mul_f64 v[5:6], v[5:6], s[14:15]
	v_and_or_b32 v1, v2, s16, v1
	v_cmp_ne_u32_e32 vcc, 0, v1
	v_and_or_b32 v5, v6, s16, v5
	v_lshrrev_b32_e32 v8, 8, v2
	v_bfe_u32 v9, v2, 20, 11
	v_cndmask_b32_e64 v1, 0, 1, vcc
	v_cmp_ne_u32_e32 vcc, 0, v5
	v_lshrrev_b32_e32 v10, 8, v6
	v_bfe_u32 v11, v6, 20, 11
	v_sub_u32_e32 v12, 0x3f1, v9
	v_cndmask_b32_e64 v5, 0, 1, vcc
	v_and_or_b32 v1, v8, s10, v1
	v_sub_u32_e32 v13, 0x3f1, v11
	v_med3_i32 v8, v12, 0, 13
	v_and_or_b32 v5, v10, s10, v5
	v_or_b32_e32 v12, 0x1000, v1
	v_add_u32_e32 v9, 0xfffffc10, v9
	v_med3_i32 v10, v13, 0, 13
	v_cmp_ne_u32_e32 vcc, 0, v1
	v_or_b32_e32 v14, 0x1000, v5
	v_lshrrev_b32_e32 v16, v8, v12
	v_add_u32_e32 v11, 0xfffffc10, v11
	v_lshl_or_b32 v13, v9, 12, v1
	v_cndmask_b32_e64 v1, 0, 1, vcc
	v_cmp_ne_u32_e32 vcc, 0, v5
	v_lshrrev_b32_e32 v17, v10, v14
	v_lshlrev_b32_e32 v8, v8, v16
	v_lshl_or_b32 v15, v11, 12, v5
	v_cndmask_b32_e64 v5, 0, 1, vcc
	v_lshlrev_b32_e32 v10, v10, v17
	v_cmp_ne_u32_e32 vcc, v8, v12
	v_cndmask_b32_e64 v8, 0, 1, vcc
	v_cmp_ne_u32_e32 vcc, v10, v14
	v_cndmask_b32_e64 v10, 0, 1, vcc
	v_or_b32_e32 v8, v16, v8
	v_cmp_gt_i32_e32 vcc, 1, v9
	v_cndmask_b32_e32 v8, v13, v8, vcc
	v_or_b32_e32 v10, v17, v10
	v_cmp_gt_i32_e32 vcc, 1, v11
	v_and_b32_e32 v12, 7, v8
	v_cndmask_b32_e32 v10, v15, v10, vcc
	v_cmp_lt_i32_e32 vcc, 5, v12
	v_cmp_eq_u32_e64 s[0:1], 3, v12
	v_lshrrev_b32_e32 v8, 2, v8
	v_and_b32_e32 v13, 7, v10
	s_or_b64 vcc, s[0:1], vcc
	v_cmp_lt_i32_e64 s[2:3], 5, v13
	v_cmp_eq_u32_e64 s[4:5], 3, v13
	v_addc_co_u32_e32 v8, vcc, 0, v8, vcc
	v_lshrrev_b32_e32 v10, 2, v10
	s_or_b64 vcc, s[4:5], s[2:3]
	v_addc_co_u32_e32 v10, vcc, 0, v10, vcc
	v_cmp_gt_i32_e32 vcc, 31, v9
	v_cndmask_b32_e32 v8, v0, v8, vcc
	v_cmp_gt_i32_e32 vcc, 31, v11
	v_lshl_or_b32 v1, v1, 9, v0
	v_lshl_or_b32 v5, v5, 9, v0
	v_cndmask_b32_e32 v0, v0, v10, vcc
	v_cmp_eq_u32_e32 vcc, s18, v9
	v_lshrrev_b32_e32 v2, 16, v2
	v_cndmask_b32_e32 v1, v8, v1, vcc
	v_cmp_eq_u32_e32 vcc, s18, v11
	v_lshrrev_b32_e32 v6, 16, v6
	v_cndmask_b32_e32 v0, v0, v5, vcc
	v_and_or_b32 v1, v2, s17, v1
	v_and_or_b32 v0, v6, s17, v0
	v_and_b32_e32 v1, 0xffff, v1
	v_lshl_or_b32 v2, v0, 16, v1
	v_add_co_u32_e32 v0, vcc, s8, v3
	v_addc_co_u32_e32 v1, vcc, v4, v7, vcc
	global_store_dword v[0:1], v2, off
.LBB0_23:
	s_endpgm
	.section	.rodata,"a",@progbits
	.p2align	6, 0x0
	.amdhsa_kernel bluestein_single_fwd_len1071_dim1_half_op_CI_CI
		.amdhsa_group_segment_fixed_size 4284
		.amdhsa_private_segment_fixed_size 0
		.amdhsa_kernarg_size 104
		.amdhsa_user_sgpr_count 6
		.amdhsa_user_sgpr_private_segment_buffer 1
		.amdhsa_user_sgpr_dispatch_ptr 0
		.amdhsa_user_sgpr_queue_ptr 0
		.amdhsa_user_sgpr_kernarg_segment_ptr 1
		.amdhsa_user_sgpr_dispatch_id 0
		.amdhsa_user_sgpr_flat_scratch_init 0
		.amdhsa_user_sgpr_private_segment_size 0
		.amdhsa_uses_dynamic_stack 0
		.amdhsa_system_sgpr_private_segment_wavefront_offset 0
		.amdhsa_system_sgpr_workgroup_id_x 1
		.amdhsa_system_sgpr_workgroup_id_y 0
		.amdhsa_system_sgpr_workgroup_id_z 0
		.amdhsa_system_sgpr_workgroup_info 0
		.amdhsa_system_vgpr_workitem_id 0
		.amdhsa_next_free_vgpr 231
		.amdhsa_next_free_sgpr 39
		.amdhsa_reserve_vcc 1
		.amdhsa_reserve_flat_scratch 0
		.amdhsa_float_round_mode_32 0
		.amdhsa_float_round_mode_16_64 0
		.amdhsa_float_denorm_mode_32 3
		.amdhsa_float_denorm_mode_16_64 3
		.amdhsa_dx10_clamp 1
		.amdhsa_ieee_mode 1
		.amdhsa_fp16_overflow 0
		.amdhsa_exception_fp_ieee_invalid_op 0
		.amdhsa_exception_fp_denorm_src 0
		.amdhsa_exception_fp_ieee_div_zero 0
		.amdhsa_exception_fp_ieee_overflow 0
		.amdhsa_exception_fp_ieee_underflow 0
		.amdhsa_exception_fp_ieee_inexact 0
		.amdhsa_exception_int_div_zero 0
	.end_amdhsa_kernel
	.text
.Lfunc_end0:
	.size	bluestein_single_fwd_len1071_dim1_half_op_CI_CI, .Lfunc_end0-bluestein_single_fwd_len1071_dim1_half_op_CI_CI
                                        ; -- End function
	.section	.AMDGPU.csdata,"",@progbits
; Kernel info:
; codeLenInByte = 27980
; NumSgprs: 43
; NumVgprs: 231
; ScratchSize: 0
; MemoryBound: 0
; FloatMode: 240
; IeeeMode: 1
; LDSByteSize: 4284 bytes/workgroup (compile time only)
; SGPRBlocks: 5
; VGPRBlocks: 57
; NumSGPRsForWavesPerEU: 43
; NumVGPRsForWavesPerEU: 231
; Occupancy: 1
; WaveLimiterHint : 1
; COMPUTE_PGM_RSRC2:SCRATCH_EN: 0
; COMPUTE_PGM_RSRC2:USER_SGPR: 6
; COMPUTE_PGM_RSRC2:TRAP_HANDLER: 0
; COMPUTE_PGM_RSRC2:TGID_X_EN: 1
; COMPUTE_PGM_RSRC2:TGID_Y_EN: 0
; COMPUTE_PGM_RSRC2:TGID_Z_EN: 0
; COMPUTE_PGM_RSRC2:TIDIG_COMP_CNT: 0
	.type	__hip_cuid_c2f7691b7f50a637,@object ; @__hip_cuid_c2f7691b7f50a637
	.section	.bss,"aw",@nobits
	.globl	__hip_cuid_c2f7691b7f50a637
__hip_cuid_c2f7691b7f50a637:
	.byte	0                               ; 0x0
	.size	__hip_cuid_c2f7691b7f50a637, 1

	.ident	"AMD clang version 19.0.0git (https://github.com/RadeonOpenCompute/llvm-project roc-6.4.0 25133 c7fe45cf4b819c5991fe208aaa96edf142730f1d)"
	.section	".note.GNU-stack","",@progbits
	.addrsig
	.addrsig_sym __hip_cuid_c2f7691b7f50a637
	.amdgpu_metadata
---
amdhsa.kernels:
  - .args:
      - .actual_access:  read_only
        .address_space:  global
        .offset:         0
        .size:           8
        .value_kind:     global_buffer
      - .actual_access:  read_only
        .address_space:  global
        .offset:         8
        .size:           8
        .value_kind:     global_buffer
      - .actual_access:  read_only
        .address_space:  global
        .offset:         16
        .size:           8
        .value_kind:     global_buffer
      - .actual_access:  read_only
        .address_space:  global
        .offset:         24
        .size:           8
        .value_kind:     global_buffer
      - .actual_access:  read_only
        .address_space:  global
        .offset:         32
        .size:           8
        .value_kind:     global_buffer
      - .offset:         40
        .size:           8
        .value_kind:     by_value
      - .address_space:  global
        .offset:         48
        .size:           8
        .value_kind:     global_buffer
      - .address_space:  global
        .offset:         56
        .size:           8
        .value_kind:     global_buffer
      - .address_space:  global
        .offset:         64
        .size:           8
        .value_kind:     global_buffer
      - .address_space:  global
        .offset:         72
        .size:           8
        .value_kind:     global_buffer
      - .offset:         80
        .size:           4
        .value_kind:     by_value
      - .address_space:  global
        .offset:         88
        .size:           8
        .value_kind:     global_buffer
      - .address_space:  global
        .offset:         96
        .size:           8
        .value_kind:     global_buffer
    .group_segment_fixed_size: 4284
    .kernarg_segment_align: 8
    .kernarg_segment_size: 104
    .language:       OpenCL C
    .language_version:
      - 2
      - 0
    .max_flat_workgroup_size: 119
    .name:           bluestein_single_fwd_len1071_dim1_half_op_CI_CI
    .private_segment_fixed_size: 0
    .sgpr_count:     43
    .sgpr_spill_count: 0
    .symbol:         bluestein_single_fwd_len1071_dim1_half_op_CI_CI.kd
    .uniform_work_group_size: 1
    .uses_dynamic_stack: false
    .vgpr_count:     231
    .vgpr_spill_count: 0
    .wavefront_size: 64
amdhsa.target:   amdgcn-amd-amdhsa--gfx906
amdhsa.version:
  - 1
  - 2
...

	.end_amdgpu_metadata
